;; amdgpu-corpus repo=ROCm/rocFFT kind=compiled arch=gfx950 opt=O3
	.text
	.amdgcn_target "amdgcn-amd-amdhsa--gfx950"
	.amdhsa_code_object_version 6
	.protected	fft_rtc_fwd_len2000_factors_5_5_5_16_wgs_125_tpt_125_halfLds_sp_op_CI_CI_unitstride_sbrr_dirReg ; -- Begin function fft_rtc_fwd_len2000_factors_5_5_5_16_wgs_125_tpt_125_halfLds_sp_op_CI_CI_unitstride_sbrr_dirReg
	.globl	fft_rtc_fwd_len2000_factors_5_5_5_16_wgs_125_tpt_125_halfLds_sp_op_CI_CI_unitstride_sbrr_dirReg
	.p2align	8
	.type	fft_rtc_fwd_len2000_factors_5_5_5_16_wgs_125_tpt_125_halfLds_sp_op_CI_CI_unitstride_sbrr_dirReg,@function
fft_rtc_fwd_len2000_factors_5_5_5_16_wgs_125_tpt_125_halfLds_sp_op_CI_CI_unitstride_sbrr_dirReg: ; @fft_rtc_fwd_len2000_factors_5_5_5_16_wgs_125_tpt_125_halfLds_sp_op_CI_CI_unitstride_sbrr_dirReg
; %bb.0:
	s_load_dwordx4 s[4:7], s[0:1], 0x58
	s_load_dwordx4 s[8:11], s[0:1], 0x0
	;; [unrolled: 1-line block ×3, first 2 shown]
	v_mul_u32_u24_e32 v1, 0x20d, v0
	v_add_u32_sdwa v8, s2, v1 dst_sel:DWORD dst_unused:UNUSED_PAD src0_sel:DWORD src1_sel:WORD_1
	v_mov_b32_e32 v6, 0
	s_waitcnt lgkmcnt(0)
	v_cmp_lt_u64_e64 s[2:3], s[10:11], 2
	v_mov_b32_e32 v9, v6
	s_and_b64 vcc, exec, s[2:3]
	v_mov_b64_e32 v[36:37], 0
	s_cbranch_vccnz .LBB0_8
; %bb.1:
	s_load_dwordx2 s[2:3], s[0:1], 0x10
	s_add_u32 s16, s14, 8
	s_addc_u32 s17, s15, 0
	s_add_u32 s18, s12, 8
	s_addc_u32 s19, s13, 0
	s_waitcnt lgkmcnt(0)
	s_add_u32 s20, s2, 8
	v_mov_b64_e32 v[36:37], 0
	s_addc_u32 s21, s3, 0
	s_mov_b64 s[22:23], 1
	v_mov_b64_e32 v[2:3], v[36:37]
.LBB0_2:                                ; =>This Inner Loop Header: Depth=1
	s_load_dwordx2 s[24:25], s[20:21], 0x0
                                        ; implicit-def: $vgpr4_vgpr5
	s_waitcnt lgkmcnt(0)
	v_or_b32_e32 v7, s25, v9
	v_cmp_ne_u64_e32 vcc, 0, v[6:7]
	s_and_saveexec_b64 s[2:3], vcc
	s_xor_b64 s[26:27], exec, s[2:3]
	s_cbranch_execz .LBB0_4
; %bb.3:                                ;   in Loop: Header=BB0_2 Depth=1
	v_cvt_f32_u32_e32 v1, s24
	v_cvt_f32_u32_e32 v4, s25
	s_sub_u32 s2, 0, s24
	s_subb_u32 s3, 0, s25
	v_fmac_f32_e32 v1, 0x4f800000, v4
	v_rcp_f32_e32 v1, v1
	s_nop 0
	v_mul_f32_e32 v1, 0x5f7ffffc, v1
	v_mul_f32_e32 v4, 0x2f800000, v1
	v_trunc_f32_e32 v4, v4
	v_fmac_f32_e32 v1, 0xcf800000, v4
	v_cvt_u32_f32_e32 v7, v4
	v_cvt_u32_f32_e32 v1, v1
	v_mul_lo_u32 v4, s2, v7
	v_mul_hi_u32 v10, s2, v1
	v_mul_lo_u32 v5, s3, v1
	v_add_u32_e32 v10, v10, v4
	v_mul_lo_u32 v12, s2, v1
	v_add_u32_e32 v13, v10, v5
	v_mul_hi_u32 v4, v1, v12
	v_mul_hi_u32 v11, v1, v13
	v_mul_lo_u32 v10, v1, v13
	v_mov_b32_e32 v5, v6
	v_lshl_add_u64 v[4:5], v[4:5], 0, v[10:11]
	v_mul_hi_u32 v11, v7, v12
	v_mul_lo_u32 v12, v7, v12
	v_add_co_u32_e32 v4, vcc, v4, v12
	v_mul_hi_u32 v10, v7, v13
	s_nop 0
	v_addc_co_u32_e32 v4, vcc, v5, v11, vcc
	v_mov_b32_e32 v5, v6
	s_nop 0
	v_addc_co_u32_e32 v11, vcc, 0, v10, vcc
	v_mul_lo_u32 v10, v7, v13
	v_lshl_add_u64 v[4:5], v[4:5], 0, v[10:11]
	v_add_co_u32_e32 v1, vcc, v1, v4
	v_mul_lo_u32 v10, s2, v1
	s_nop 0
	v_addc_co_u32_e32 v7, vcc, v7, v5, vcc
	v_mul_lo_u32 v4, s2, v7
	v_mul_hi_u32 v5, s2, v1
	v_add_u32_e32 v4, v5, v4
	v_mul_lo_u32 v5, s3, v1
	v_add_u32_e32 v12, v4, v5
	v_mul_hi_u32 v14, v7, v10
	v_mul_lo_u32 v15, v7, v10
	v_mul_hi_u32 v5, v1, v12
	v_mul_lo_u32 v4, v1, v12
	v_mul_hi_u32 v10, v1, v10
	v_mov_b32_e32 v11, v6
	v_lshl_add_u64 v[4:5], v[10:11], 0, v[4:5]
	v_add_co_u32_e32 v4, vcc, v4, v15
	v_mul_hi_u32 v13, v7, v12
	s_nop 0
	v_addc_co_u32_e32 v4, vcc, v5, v14, vcc
	v_mul_lo_u32 v10, v7, v12
	s_nop 0
	v_addc_co_u32_e32 v11, vcc, 0, v13, vcc
	v_mov_b32_e32 v5, v6
	v_lshl_add_u64 v[4:5], v[4:5], 0, v[10:11]
	v_add_co_u32_e32 v1, vcc, v1, v4
	v_mul_hi_u32 v10, v8, v1
	s_nop 0
	v_addc_co_u32_e32 v7, vcc, v7, v5, vcc
	v_mad_u64_u32 v[4:5], s[2:3], v8, v7, 0
	v_mov_b32_e32 v11, v6
	v_lshl_add_u64 v[4:5], v[10:11], 0, v[4:5]
	v_mad_u64_u32 v[12:13], s[2:3], v9, v1, 0
	v_add_co_u32_e32 v1, vcc, v4, v12
	v_mad_u64_u32 v[10:11], s[2:3], v9, v7, 0
	s_nop 0
	v_addc_co_u32_e32 v4, vcc, v5, v13, vcc
	v_mov_b32_e32 v5, v6
	s_nop 0
	v_addc_co_u32_e32 v11, vcc, 0, v11, vcc
	v_lshl_add_u64 v[4:5], v[4:5], 0, v[10:11]
	v_mul_lo_u32 v1, s25, v4
	v_mul_lo_u32 v7, s24, v5
	v_mad_u64_u32 v[10:11], s[2:3], s24, v4, 0
	v_add3_u32 v1, v11, v7, v1
	v_sub_u32_e32 v7, v9, v1
	v_mov_b32_e32 v11, s25
	v_sub_co_u32_e32 v14, vcc, v8, v10
	v_lshl_add_u64 v[12:13], v[4:5], 0, 1
	s_nop 0
	v_subb_co_u32_e64 v7, s[2:3], v7, v11, vcc
	v_subrev_co_u32_e64 v10, s[2:3], s24, v14
	v_subb_co_u32_e32 v1, vcc, v9, v1, vcc
	s_nop 0
	v_subbrev_co_u32_e64 v7, s[2:3], 0, v7, s[2:3]
	v_cmp_le_u32_e64 s[2:3], s25, v7
	v_cmp_le_u32_e32 vcc, s25, v1
	s_nop 0
	v_cndmask_b32_e64 v11, 0, -1, s[2:3]
	v_cmp_le_u32_e64 s[2:3], s24, v10
	s_nop 1
	v_cndmask_b32_e64 v10, 0, -1, s[2:3]
	v_cmp_eq_u32_e64 s[2:3], s25, v7
	s_nop 1
	v_cndmask_b32_e64 v7, v11, v10, s[2:3]
	v_lshl_add_u64 v[10:11], v[4:5], 0, 2
	v_cmp_ne_u32_e64 s[2:3], 0, v7
	s_nop 1
	v_cndmask_b32_e64 v7, v13, v11, s[2:3]
	v_cndmask_b32_e64 v11, 0, -1, vcc
	v_cmp_le_u32_e32 vcc, s24, v14
	s_nop 1
	v_cndmask_b32_e64 v13, 0, -1, vcc
	v_cmp_eq_u32_e32 vcc, s25, v1
	s_nop 1
	v_cndmask_b32_e32 v1, v11, v13, vcc
	v_cmp_ne_u32_e32 vcc, 0, v1
	v_cndmask_b32_e64 v1, v12, v10, s[2:3]
	s_nop 0
	v_cndmask_b32_e32 v5, v5, v7, vcc
	v_cndmask_b32_e32 v4, v4, v1, vcc
.LBB0_4:                                ;   in Loop: Header=BB0_2 Depth=1
	s_andn2_saveexec_b64 s[2:3], s[26:27]
	s_cbranch_execz .LBB0_6
; %bb.5:                                ;   in Loop: Header=BB0_2 Depth=1
	v_cvt_f32_u32_e32 v1, s24
	s_sub_i32 s26, 0, s24
	v_rcp_iflag_f32_e32 v1, v1
	s_nop 0
	v_mul_f32_e32 v1, 0x4f7ffffe, v1
	v_cvt_u32_f32_e32 v1, v1
	v_mul_lo_u32 v4, s26, v1
	v_mul_hi_u32 v4, v1, v4
	v_add_u32_e32 v1, v1, v4
	v_mul_hi_u32 v1, v8, v1
	v_mul_lo_u32 v4, v1, s24
	v_sub_u32_e32 v4, v8, v4
	v_add_u32_e32 v5, 1, v1
	v_subrev_u32_e32 v7, s24, v4
	v_cmp_le_u32_e32 vcc, s24, v4
	s_nop 1
	v_cndmask_b32_e32 v4, v4, v7, vcc
	v_cndmask_b32_e32 v1, v1, v5, vcc
	v_add_u32_e32 v5, 1, v1
	v_cmp_le_u32_e32 vcc, s24, v4
	s_nop 1
	v_cndmask_b32_e32 v4, v1, v5, vcc
	v_mov_b32_e32 v5, v6
.LBB0_6:                                ;   in Loop: Header=BB0_2 Depth=1
	s_or_b64 exec, exec, s[2:3]
	v_mad_u64_u32 v[10:11], s[2:3], v4, s24, 0
	s_load_dwordx2 s[2:3], s[18:19], 0x0
	v_mul_lo_u32 v1, v5, s24
	v_mul_lo_u32 v7, v4, s25
	s_load_dwordx2 s[24:25], s[16:17], 0x0
	s_add_u32 s22, s22, 1
	v_add3_u32 v1, v11, v7, v1
	v_sub_co_u32_e32 v7, vcc, v8, v10
	s_addc_u32 s23, s23, 0
	s_nop 0
	v_subb_co_u32_e32 v1, vcc, v9, v1, vcc
	s_add_u32 s16, s16, 8
	s_waitcnt lgkmcnt(0)
	v_mul_lo_u32 v8, s2, v1
	v_mul_lo_u32 v9, s3, v7
	v_mad_u64_u32 v[36:37], s[2:3], s2, v7, v[36:37]
	s_addc_u32 s17, s17, 0
	v_add3_u32 v37, v9, v37, v8
	v_mul_lo_u32 v1, s24, v1
	v_mul_lo_u32 v8, s25, v7
	v_mad_u64_u32 v[2:3], s[2:3], s24, v7, v[2:3]
	s_add_u32 s18, s18, 8
	v_add3_u32 v3, v8, v3, v1
	s_addc_u32 s19, s19, 0
	v_mov_b64_e32 v[8:9], s[10:11]
	s_add_u32 s20, s20, 8
	v_cmp_ge_u64_e32 vcc, s[22:23], v[8:9]
	s_addc_u32 s21, s21, 0
	s_cbranch_vccnz .LBB0_9
; %bb.7:                                ;   in Loop: Header=BB0_2 Depth=1
	v_mov_b64_e32 v[8:9], v[4:5]
	s_branch .LBB0_2
.LBB0_8:
	v_mov_b64_e32 v[2:3], v[36:37]
	v_mov_b64_e32 v[4:5], v[8:9]
.LBB0_9:
	s_load_dwordx2 s[2:3], s[0:1], 0x28
	s_lshl_b64 s[16:17], s[10:11], 3
	s_add_u32 s10, s14, s16
	s_addc_u32 s11, s15, s17
                                        ; implicit-def: $sgpr14
                                        ; implicit-def: $vgpr74
	s_waitcnt lgkmcnt(0)
	v_cmp_gt_u64_e64 s[0:1], s[2:3], v[4:5]
	v_cmp_le_u64_e32 vcc, s[2:3], v[4:5]
	s_and_saveexec_b64 s[2:3], vcc
	s_xor_b64 s[2:3], exec, s[2:3]
; %bb.10:
	s_mov_b32 s14, 0x20c49bb
	v_mul_hi_u32 v1, v0, s14
	v_mul_u32_u24_e32 v1, 0x7d, v1
	v_sub_u32_e32 v74, v0, v1
	s_mov_b32 s14, 0
                                        ; implicit-def: $vgpr0
                                        ; implicit-def: $vgpr36_vgpr37
; %bb.11:
	s_or_saveexec_b64 s[2:3], s[2:3]
	s_load_dwordx2 s[10:11], s[10:11], 0x0
	v_mov_b32_e32 v6, s14
                                        ; implicit-def: $vgpr28
                                        ; implicit-def: $vgpr30
                                        ; implicit-def: $vgpr50
                                        ; implicit-def: $vgpr44
                                        ; implicit-def: $vgpr32
                                        ; implicit-def: $vgpr52
                                        ; implicit-def: $vgpr46
                                        ; implicit-def: $vgpr34
                                        ; implicit-def: $vgpr20
                                        ; implicit-def: $vgpr16
                                        ; implicit-def: $vgpr12
                                        ; implicit-def: $vgpr14
                                        ; implicit-def: $vgpr10
                                        ; implicit-def: $vgpr27
                                        ; implicit-def: $vgpr55
                                        ; implicit-def: $vgpr23
                                        ; implicit-def: $vgpr49
                                        ; implicit-def: $vgpr9
                                        ; implicit-def: $vgpr18
                                        ; implicit-def: $vgpr24
	s_xor_b64 exec, exec, s[2:3]
	s_cbranch_execz .LBB0_15
; %bb.12:
	s_add_u32 s12, s12, s16
	s_addc_u32 s13, s13, s17
	s_load_dwordx2 s[12:13], s[12:13], 0x0
	s_mov_b32 s14, 0x20c49bb
                                        ; implicit-def: $vgpr17
                                        ; implicit-def: $vgpr21
	s_waitcnt lgkmcnt(0)
	v_mul_lo_u32 v1, s13, v4
	v_mul_lo_u32 v8, s12, v5
	v_mad_u64_u32 v[6:7], s[12:13], s12, v4, 0
	v_add3_u32 v7, v7, v8, v1
	v_mul_hi_u32 v1, v0, s14
	v_mul_u32_u24_e32 v1, 0x7d, v1
	v_sub_u32_e32 v74, v0, v1
	v_lshl_add_u64 v[0:1], v[6:7], 3, s[4:5]
	v_lshl_add_u64 v[0:1], v[36:37], 3, v[0:1]
	v_lshlrev_b32_e32 v6, 3, v74
	v_mov_b32_e32 v7, 0
	v_lshl_add_u64 v[6:7], v[0:1], 0, v[6:7]
	s_movk_i32 s4, 0x1000
	v_add_co_u32_e32 v10, vcc, s4, v6
	s_movk_i32 s4, 0x2000
	s_nop 0
	v_addc_co_u32_e32 v11, vcc, 0, v7, vcc
	v_add_co_u32_e32 v12, vcc, s4, v6
	s_movk_i32 s4, 0x3000
	s_nop 0
	v_addc_co_u32_e32 v13, vcc, 0, v7, vcc
	v_add_co_u32_e32 v14, vcc, s4, v6
	s_nop 1
	v_addc_co_u32_e32 v15, vcc, 0, v7, vcc
	global_load_dwordx2 v[34:35], v[6:7], off
	global_load_dwordx2 v[48:49], v[6:7], off offset:1000
	global_load_dwordx2 v[24:25], v[10:11], off offset:104
	;; [unrolled: 1-line block ×14, first 2 shown]
	v_cmp_gt_u32_e32 vcc, 25, v74
                                        ; implicit-def: $vgpr11
                                        ; implicit-def: $vgpr15
                                        ; implicit-def: $vgpr13
	s_and_saveexec_b64 s[4:5], vcc
	s_cbranch_execz .LBB0_14
; %bb.13:
	v_add_co_u32_e32 v32, vcc, 0x1000, v6
	s_nop 1
	v_addc_co_u32_e32 v33, vcc, 0, v7, vcc
	v_add_co_u32_e32 v44, vcc, 0x2000, v6
	s_nop 1
	v_addc_co_u32_e32 v45, vcc, 0, v7, vcc
	;; [unrolled: 3-line block ×3, first 2 shown]
	global_load_dwordx2 v[10:11], v[6:7], off offset:3000
	global_load_dwordx2 v[14:15], v[32:33], off offset:2104
	;; [unrolled: 1-line block ×5, first 2 shown]
.LBB0_14:
	s_or_b64 exec, exec, s[4:5]
	v_mov_b32_e32 v6, v74
	s_waitcnt vmcnt(14)
	v_mov_b32_e32 v50, v35
	s_waitcnt vmcnt(8)
	v_mov_b32_e32 v51, v31
	v_mov_b32_e32 v44, v49
	;; [unrolled: 1-line block ×4, first 2 shown]
	s_waitcnt vmcnt(3)
	v_mov_b32_e32 v33, v37
	v_mov_b32_e32 v52, v29
	;; [unrolled: 1-line block ×8, first 2 shown]
	s_waitcnt vmcnt(2)
	v_mov_b32_e32 v29, v42
	v_mov_b32_e32 v26, v43
	v_mov_b32_e32 v55, v22
	s_waitcnt vmcnt(1)
	v_mov_b32_e32 v54, v40
	v_mov_b32_e32 v22, v41
	v_mov_b32_e32 v49, v8
	;; [unrolled: 4-line block ×3, first 2 shown]
	v_mov_b32_e32 v25, v0
.LBB0_15:
	s_or_b64 exec, exec, s[2:3]
	v_sub_f32_e32 v7, v51, v27
	v_add_f32_e32 v0, v29, v28
	v_pk_add_f32 v[38:39], v[24:25], v[54:55]
	v_mul_f32_e32 v1, 0x3f737871, v7
	v_mul_f32_e32 v37, 0.5, v0
	v_mul_f32_e32 v39, 0.5, v39
	v_mov_b32_e32 v40, v24
	v_mov_b32_e32 v41, v54
	;; [unrolled: 1-line block ×4, first 2 shown]
	v_mul_f32_e32 v59, 0.5, v38
	v_mov_b32_e32 v0, v47
	v_mov_b32_e32 v38, v24
	;; [unrolled: 1-line block ×3, first 2 shown]
	v_pk_add_f32 v[56:57], v[40:41], v[42:43] neg_lo:[0,1] neg_hi:[0,1]
	v_pk_add_f32 v[40:41], v[42:43], v[40:41] neg_lo:[0,1] neg_hi:[0,1]
	v_pk_add_f32 v[42:43], v[0:1], v[24:25] op_sel_hi:[0,1]
	v_pk_add_f32 v[60:61], v[0:1], v[38:39] op_sel_hi:[0,1] neg_lo:[0,1] neg_hi:[0,1]
	v_pk_add_f32 v[58:59], v[46:47], v[58:59] neg_lo:[0,1] neg_hi:[0,1]
	v_sub_f32_e32 v75, v45, v23
	v_mov_b32_e32 v43, v61
	v_mul_f32_e32 v39, 0x3f737871, v58
	v_mov_b32_e32 v38, v25
	v_pk_add_f32 v[38:39], v[42:43], v[38:39]
	v_mul_f32_e32 v43, 0x3f167918, v75
	v_add_f32_e32 v77, v56, v57
	v_mov_b32_e32 v42, v55
	v_pk_add_f32 v[38:39], v[38:39], v[42:43]
	v_mul_f32_e32 v43, 0x3e9e377a, v77
	v_mad_u32_u24 v76, v74, 20, 0
	v_mov_b32_e32 v36, v26
	v_mov_b32_e32 v42, v54
	s_mov_b32 s2, 0x3f167918
	v_pk_add_f32 v[56:57], v[52:53], v[36:37] neg_lo:[0,1] neg_hi:[0,1]
	v_pk_add_f32 v[36:37], v[38:39], v[42:43]
	v_add_u32_e32 v0, 0x9c4, v76
	ds_write2_b32 v0, v36, v37 offset1:1
	v_pk_mul_f32 v[36:37], v[56:57], s[2:3]
	v_mul_f32_e32 v60, 0x3f737871, v75
	v_fmamk_f32 v42, v7, 0xbf737871, v57
	v_mov_b32_e32 v0, 0x3f167918
	v_mov_b32_e32 v43, v36
	v_pk_add_f32 v[62:63], v[56:57], v[0:1]
	v_pk_fma_f32 v[64:65], v[56:57], v[0:1], v[42:43]
	v_mov_b32_e32 v1, v60
	v_pk_mul_f32 v[36:37], v[58:59], s[2:3]
	v_pk_add_f32 v[38:39], v[58:59], v[0:1]
	v_mov_b32_e32 v37, v36
	v_fmamk_f32 v36, v75, 0xbf737871, v59
	v_pk_add_f32 v[38:39], v[38:39], v[36:37] neg_lo:[0,1] neg_hi:[0,1]
	v_pk_fma_f32 v[36:37], v[58:59], v[0:1], v[36:37]
	v_add_f32_e32 v1, v40, v41
	v_mov_b32_e32 v37, v39
	v_mul_f32_e32 v38, 0x3e9e377a, v1
	v_pk_add_f32 v[36:37], v[38:39], v[36:37] op_sel_hi:[0,1]
	v_add_u32_e32 v1, 0x9cc, v76
	ds_write2_b32 v1, v36, v37 offset1:1
	v_pk_add_f32 v[36:37], v[18:19], v[48:49]
	v_mov_b32_e32 v38, v35
	v_mul_f32_e32 v37, 0.5, v37
	v_mul_f32_e32 v39, 0.5, v36
	v_mov_b32_e32 v36, v18
	v_pk_add_f32 v[40:41], v[38:39], v[36:37] op_sel_hi:[0,1] neg_lo:[0,1] neg_hi:[0,1]
	v_pk_add_f32 v[36:37], v[38:39], v[18:19] op_sel_hi:[0,1]
	v_mov_b32_e32 v38, v8
	v_pk_add_f32 v[78:79], v[34:35], v[38:39] neg_lo:[0,1] neg_hi:[0,1]
	v_mov_b32_e32 v37, v41
	v_mul_f32_e32 v39, 0x3f737871, v78
	v_mov_b32_e32 v38, v19
	v_sub_f32_e32 v57, v33, v9
	v_pk_add_f32 v[36:37], v[36:37], v[38:39]
	v_mul_f32_e32 v39, 0x3f167918, v57
	v_mov_b32_e32 v38, v49
	v_pk_add_f32 v[36:37], v[36:37], v[38:39]
	v_mov_b32_e32 v38, v18
	v_mov_b32_e32 v39, v48
	;; [unrolled: 1-line block ×4, first 2 shown]
	v_pk_add_f32 v[68:69], v[38:39], v[66:67] neg_lo:[0,1] neg_hi:[0,1]
	v_add_u32_e32 v1, 0x1388, v76
	v_add_f32_e32 v59, v68, v69
	v_mul_f32_e32 v69, 0x3e9e377a, v59
	v_mov_b32_e32 v68, v48
	v_pk_add_f32 v[36:37], v[36:37], v[68:69]
	ds_write2_b32 v1, v36, v37 offset1:1
	v_pk_add_f32 v[36:37], v[66:67], v[38:39] neg_lo:[0,1] neg_hi:[0,1]
	v_mul_f32_e32 v1, 0x3f737871, v57
	v_pk_mul_f32 v[38:39], v[78:79], s[2:3]
	v_pk_add_f32 v[66:67], v[78:79], v[0:1]
	v_mov_b32_e32 v39, v38
	v_fmamk_f32 v38, v57, 0xbf737871, v79
	v_pk_fma_f32 v[0:1], v[78:79], v[0:1], v[38:39]
	v_pk_add_f32 v[38:39], v[66:67], v[38:39] neg_lo:[0,1] neg_hi:[0,1]
	v_add_f32_e32 v36, v36, v37
	v_mov_b32_e32 v1, v39
	v_mul_f32_e32 v36, 0x3e9e377a, v36
	v_pk_add_f32 v[0:1], v[36:37], v[0:1] op_sel_hi:[0,1]
	v_add_u32_e32 v36, 0x1390, v76
	v_mov_b32_e32 v70, v14
	v_mov_b32_e32 v71, v12
	;; [unrolled: 1-line block ×4, first 2 shown]
	ds_write2_b32 v36, v0, v1 offset1:1
	v_mov_b32_e32 v66, v15
	v_mov_b32_e32 v67, v13
	;; [unrolled: 1-line block ×4, first 2 shown]
	v_pk_add_f32 v[0:1], v[72:73], v[70:71]
	s_mov_b32 s4, 0x3f737871
	v_pk_fma_f32 v[0:1], -0.5, v[0:1], v[10:11] op_sel_hi:[0,1,0]
	v_pk_add_f32 v[36:37], v[66:67], v[68:69] neg_lo:[0,1] neg_hi:[0,1]
	v_mov_b32_e32 v82, v16
	v_pk_fma_f32 v[38:39], v[36:37], s[4:5], v[0:1] op_sel:[0,0,1] op_sel_hi:[1,0,0] neg_lo:[1,0,0] neg_hi:[1,0,0]
	v_pk_fma_f32 v[80:81], v[36:37], s[4:5], v[0:1] op_sel:[0,0,1] op_sel_hi:[1,0,0]
	v_mov_b32_e32 v83, v20
	v_mov_b32_e32 v81, v39
	v_pk_mul_f32 v[38:39], v[36:37], s[2:3] op_sel_hi:[1,0]
	v_pk_add_f32 v[82:83], v[72:73], v[82:83] neg_lo:[0,1] neg_hi:[0,1]
	v_pk_add_f32 v[38:39], v[38:39], v[80:81] op_sel:[1,0] op_sel_hi:[0,1]
	v_mov_b32_e32 v80, v12
	v_mov_b32_e32 v81, v14
	v_pk_add_f32 v[80:81], v[70:71], v[80:81] neg_lo:[0,1] neg_hi:[0,1]
	v_add_f32_e32 v40, v31, v30
	v_pk_add_f32 v[80:81], v[82:83], v[80:81]
	v_pk_mul_f32 v[82:83], v[36:37], s[4:5] op_sel_hi:[1,0]
	v_fmac_f32_e32 v61, 0xbf737871, v58
	v_pk_add_f32 v[84:85], v[0:1], v[82:83] op_sel:[0,1] op_sel_hi:[1,0] neg_lo:[0,1] neg_hi:[0,1]
	v_pk_add_f32 v[0:1], v[0:1], v[82:83] op_sel:[0,1] op_sel_hi:[1,0]
	v_fmac_f32_e32 v61, 0xbf167918, v75
	v_mov_b32_e32 v1, v85
	v_pk_fma_f32 v[0:1], v[36:37], s[2:3], v[0:1] op_sel_hi:[1,0,1] neg_lo:[1,0,0] neg_hi:[1,0,0]
	s_mov_b32 s2, 0x3e9e377a
	v_pk_mul_f32 v[36:37], v[80:81], s[2:3] op_sel_hi:[1,0]
	v_pk_fma_f32 v[38:39], v[80:81], s[2:3], v[38:39] op_sel_hi:[1,0,1]
	v_pk_add_f32 v[36:37], v[36:37], v[0:1] op_sel:[1,0] op_sel_hi:[0,1]
	v_pk_add_f32 v[0:1], v[62:63], v[42:43] neg_lo:[0,1] neg_hi:[0,1]
	v_mul_f32_e32 v43, 0.5, v40
	v_mov_b32_e32 v65, v1
	v_pk_add_f32 v[0:1], v[30:31], v[28:29] neg_lo:[0,1] neg_hi:[0,1]
	v_mov_b32_e32 v42, v28
	v_add_f32_e32 v0, v0, v1
	v_mov_b32_e32 v40, v53
	v_mul_f32_e32 v0, 0x3e9e377a, v0
	v_pk_add_f32 v[42:43], v[40:41], v[42:43] op_sel_hi:[0,1] neg_lo:[0,1] neg_hi:[0,1]
	v_pk_add_f32 v[62:63], v[40:41], v[28:29] op_sel_hi:[0,1]
	v_pk_add_f32 v[0:1], v[0:1], v[64:65] op_sel_hi:[0,1]
	v_mov_b32_e32 v63, v43
	v_mul_f32_e32 v65, 0x3f737871, v56
	v_mov_b32_e32 v64, v30
	v_pk_add_f32 v[62:63], v[62:63], v[64:65]
	v_mul_f32_e32 v65, 0x3f167918, v7
	v_mov_b32_e32 v64, v31
	v_pk_add_f32 v[62:63], v[62:63], v[64:65]
	v_pk_add_f32 v[64:65], v[28:29], v[30:31] neg_lo:[0,1] neg_hi:[0,1]
	v_fmac_f32_e32 v43, 0xbf737871, v56
	v_add_f32_e32 v40, v64, v65
	v_mul_f32_e32 v65, 0x3e9e377a, v40
	v_mov_b32_e32 v64, v29
	v_pk_add_f32 v[62:63], v[62:63], v[64:65]
	ds_write2_b32 v76, v62, v63 offset1:1
	ds_write2_b32 v76, v0, v1 offset0:2 offset1:3
	v_pk_add_f32 v[0:1], v[14:15], v[10:11]
	v_fmac_f32_e32 v41, 0xbf737871, v78
	v_pk_add_f32 v[0:1], v[12:13], v[0:1]
	v_fmac_f32_e32 v43, 0xbf167918, v7
	;; [unrolled: 2-line block ×3, first 2 shown]
	v_fmac_f32_e32 v43, 0x3e9e377a, v40
	v_fmac_f32_e32 v61, 0x3e9e377a, v77
	v_pk_add_f32 v[0:1], v[20:21], v[0:1]
	v_fmac_f32_e32 v41, 0x3e9e377a, v59
	v_cmp_lt_u32_e64 s[2:3], 24, v74
	v_cmp_gt_u32_e32 vcc, 25, v74
	ds_write_b32 v76, v43 offset:16
	ds_write_b32 v76, v61 offset:2516
	;; [unrolled: 1-line block ×3, first 2 shown]
	s_and_saveexec_b64 s[4:5], vcc
	s_cbranch_execz .LBB0_17
; %bb.16:
	v_add_u32_e32 v7, 0x1d50, v76
	ds_write2_b32 v7, v38, v39 offset1:1
	v_add_u32_e32 v7, 0x1d58, v76
	ds_write_b32 v76, v0 offset:7500
	ds_write2_b32 v7, v36, v37 offset1:1
.LBB0_17:
	s_or_b64 exec, exec, s[4:5]
	v_lshlrev_b32_e32 v7, 4, v74
	v_sub_u32_e32 v7, v76, v7
	v_add_u32_e32 v12, 0x300, v7
	s_waitcnt lgkmcnt(0)
	s_barrier
	ds_read2_b32 v[40:41], v12 offset0:58 offset1:208
	v_add_u32_e32 v12, 0xc00, v7
	ds_read2_b32 v[64:65], v12 offset0:32 offset1:157
	v_add_u32_e32 v12, 0x1000, v7
	;; [unrolled: 2-line block ×5, first 2 shown]
	ds_read2_b32 v[42:43], v7 offset1:125
	ds_read2_b32 v[58:59], v12 offset0:45 offset1:170
	ds_read_b32 v75, v7 offset:7400
	s_and_saveexec_b64 s[4:5], s[2:3]
	s_xor_b64 s[4:5], exec, s[4:5]
	s_andn2_saveexec_b64 s[4:5], s[4:5]
	s_cbranch_execz .LBB0_19
; %bb.18:
	ds_read_b32 v0, v7 offset:1500
	ds_read_b32 v38, v7 offset:3100
	;; [unrolled: 1-line block ×5, first 2 shown]
.LBB0_19:
	s_or_b64 exec, exec, s[4:5]
	v_mov_b32_e32 v77, v26
	v_mov_b32_e32 v84, v28
	;; [unrolled: 1-line block ×4, first 2 shown]
	s_mov_b32 s12, 0x3f737871
	v_add_f32_e32 v12, v51, v27
	v_pk_add_f32 v[78:79], v[76:77], v[26:27] neg_lo:[0,1] neg_hi:[0,1]
	v_pk_add_f32 v[80:81], v[52:53], v[50:51]
	v_pk_add_f32 v[82:83], v[52:53], v[50:51] op_sel_hi:[0,1] neg_lo:[0,1] neg_hi:[0,1]
	v_pk_add_f32 v[28:29], v[84:85], v[30:31] neg_lo:[0,1] neg_hi:[0,1]
	s_mov_b32 s13, 0x3f167918
	v_fma_f32 v12, -0.5, v12, v50
	v_mov_b32_e32 v81, v83
	v_mov_b32_e32 v78, v51
	v_pk_mul_f32 v[30:31], v[28:29], s[12:13]
	v_pk_add_f32 v[78:79], v[80:81], v[78:79]
	v_mov_b32_e32 v81, 0x3e9e377a
	v_mov_b32_e32 v80, v27
	v_add_f32_e32 v14, v52, v26
	v_sub_f32_e32 v16, v12, v30
	v_add_f32_e32 v12, v12, v30
	s_mov_b32 s14, s13
	s_mov_b32 s15, s12
	v_pk_add_f32 v[82:83], v[78:79], v[80:81]
	v_pk_mul_f32 v[78:79], v[78:79], v[80:81]
	v_fma_f32 v14, -0.5, v14, v50
	v_add_f32_e32 v12, v31, v12
	v_pk_mul_f32 v[28:29], v[28:29], s[14:15]
	v_mov_b32_e32 v50, v51
	v_mov_b32_e32 v51, v27
	;; [unrolled: 1-line block ×4, first 2 shown]
	v_add_f32_e32 v77, v79, v12
	v_add_f32_e32 v12, v29, v14
	v_pk_add_f32 v[26:27], v[50:51], v[52:53] neg_lo:[0,1] neg_hi:[0,1]
	v_sub_f32_e32 v30, v12, v28
	v_add_f32_e32 v12, v26, v27
	v_sub_f32_e32 v14, v14, v29
	v_sub_f32_e32 v85, v16, v31
	v_mul_f32_e32 v12, 0x3e9e377a, v12
	v_add_f32_e32 v31, v28, v14
	v_mov_b32_e32 v29, v22
	v_pk_add_f32 v[26:27], v[12:13], v[30:31] op_sel_hi:[0,1]
	v_add_f32_e32 v12, v45, v23
	v_pk_add_f32 v[28:29], v[28:29], v[22:23] neg_lo:[0,1] neg_hi:[0,1]
	v_pk_add_f32 v[30:31], v[46:47], v[44:45]
	v_pk_add_f32 v[50:51], v[46:47], v[44:45] op_sel_hi:[0,1] neg_lo:[0,1] neg_hi:[0,1]
	v_pk_add_f32 v[24:25], v[24:25], v[54:55] neg_lo:[0,1] neg_hi:[0,1]
	v_fma_f32 v12, -0.5, v12, v44
	v_mov_b32_e32 v31, v51
	v_mov_b32_e32 v28, v45
	v_pk_mul_f32 v[50:51], v[24:25], s[12:13]
	v_pk_add_f32 v[28:29], v[30:31], v[28:29]
	v_mov_b32_e32 v80, v23
	v_add_f32_e32 v14, v46, v22
	v_sub_f32_e32 v16, v12, v50
	v_add_f32_e32 v12, v12, v50
	v_pk_add_f32 v[30:31], v[28:29], v[80:81]
	v_pk_mul_f32 v[28:29], v[28:29], v[80:81]
	v_fma_f32 v14, -0.5, v14, v44
	v_add_f32_e32 v12, v51, v12
	v_pk_mul_f32 v[24:25], v[24:25], s[14:15]
	v_mov_b32_e32 v44, v45
	v_mov_b32_e32 v45, v23
	;; [unrolled: 1-line block ×4, first 2 shown]
	v_add_f32_e32 v50, v29, v12
	v_add_f32_e32 v12, v25, v14
	v_pk_add_f32 v[22:23], v[44:45], v[46:47] neg_lo:[0,1] neg_hi:[0,1]
	v_sub_f32_e32 v28, v12, v24
	v_add_f32_e32 v12, v22, v23
	v_sub_f32_e32 v14, v14, v25
	v_mov_b32_e32 v31, v29
	v_mul_f32_e32 v12, 0x3e9e377a, v12
	v_add_f32_e32 v29, v24, v14
	v_mov_b32_e32 v25, v8
	v_pk_add_f32 v[22:23], v[12:13], v[28:29] op_sel_hi:[0,1]
	v_add_f32_e32 v12, v33, v9
	v_pk_add_f32 v[24:25], v[24:25], v[8:9] neg_lo:[0,1] neg_hi:[0,1]
	v_pk_add_f32 v[28:29], v[34:35], v[32:33]
	v_pk_add_f32 v[44:45], v[34:35], v[32:33] op_sel_hi:[0,1] neg_lo:[0,1] neg_hi:[0,1]
	v_pk_add_f32 v[18:19], v[18:19], v[48:49] neg_lo:[0,1] neg_hi:[0,1]
	v_fma_f32 v12, -0.5, v12, v32
	v_mov_b32_e32 v29, v45
	v_mov_b32_e32 v24, v33
	v_pk_mul_f32 v[44:45], v[18:19], s[12:13]
	v_sub_f32_e32 v53, v16, v51
	v_pk_add_f32 v[24:25], v[28:29], v[24:25]
	v_mov_b32_e32 v80, v9
	v_add_f32_e32 v14, v34, v8
	v_sub_f32_e32 v16, v12, v44
	v_add_f32_e32 v12, v12, v44
	v_pk_add_f32 v[28:29], v[24:25], v[80:81]
	v_pk_mul_f32 v[24:25], v[24:25], v[80:81]
	v_fma_f32 v14, -0.5, v14, v32
	v_add_f32_e32 v12, v45, v12
	v_pk_mul_f32 v[18:19], v[18:19], s[14:15]
	v_add_f32_e32 v44, v25, v12
	v_add_f32_e32 v12, v19, v14
	v_mov_b32_e32 v32, v33
	v_mov_b32_e32 v33, v9
	;; [unrolled: 1-line block ×3, first 2 shown]
	v_sub_f32_e32 v47, v16, v45
	v_mov_b32_e32 v46, v8
	v_sub_f32_e32 v24, v12, v18
	v_pk_add_f32 v[8:9], v[32:33], v[34:35] neg_lo:[0,1] neg_hi:[0,1]
	v_mov_b32_e32 v16, v21
	v_mov_b32_e32 v12, v15
	v_add_f32_e32 v8, v8, v9
	v_sub_f32_e32 v9, v14, v19
	v_pk_add_f32 v[12:13], v[16:17], v[12:13]
	v_mov_b32_e32 v29, v25
	v_add_f32_e32 v25, v18, v9
	v_pk_add_f32 v[18:19], v[70:71], v[72:73] neg_lo:[0,1] neg_hi:[0,1]
	v_pk_fma_f32 v[10:11], -0.5, v[12:13], v[10:11] op_sel:[0,0,1] op_sel_hi:[0,1,1]
	v_mul_f32_e32 v8, 0x3e9e377a, v8
	v_pk_mul_f32 v[12:13], v[18:19], s[12:13] op_sel_hi:[1,0]
	v_pk_fma_f32 v[14:15], v[18:19], s[12:13], v[10:11] op_sel:[0,0,1] op_sel_hi:[1,0,0]
	v_pk_fma_f32 v[16:17], v[18:19], s[12:13], v[10:11] op_sel:[0,0,1] op_sel_hi:[1,0,0] neg_lo:[1,0,0] neg_hi:[1,0,0]
	s_mov_b32 s12, s13
	v_pk_add_f32 v[8:9], v[8:9], v[24:25] op_sel_hi:[0,1]
	v_pk_add_f32 v[24:25], v[66:67], v[66:67] op_sel:[1,0] op_sel_hi:[0,1] neg_lo:[0,1] neg_hi:[0,1]
	v_pk_add_f32 v[32:33], v[68:69], v[68:69] op_sel:[1,0] op_sel_hi:[0,1] neg_lo:[0,1] neg_hi:[0,1]
	v_mov_b32_e32 v17, v15
	v_pk_mul_f32 v[14:15], v[18:19], s[12:13] op_sel_hi:[1,0]
	s_mov_b32 s4, 0x3e9e377a
	v_pk_add_f32 v[14:15], v[16:17], v[14:15] op_sel:[0,1] op_sel_hi:[1,0] neg_lo:[0,1] neg_hi:[0,1]
	v_pk_add_f32 v[16:17], v[32:33], v[24:25]
	v_pk_add_f32 v[24:25], v[10:11], v[12:13] op_sel:[0,1] op_sel_hi:[1,0]
	v_pk_add_f32 v[10:11], v[10:11], v[12:13] op_sel:[0,1] op_sel_hi:[1,0] neg_lo:[0,1] neg_hi:[0,1]
	v_mov_b32_e32 v83, v79
	v_mov_b32_e32 v11, v25
	v_pk_fma_f32 v[10:11], v[18:19], s[12:13], v[10:11] op_sel_hi:[1,0,1]
	v_pk_add_f32 v[82:83], v[82:83], v[84:85]
	v_pk_add_f32 v[30:31], v[30:31], v[52:53]
	v_pk_fma_f32 v[12:13], v[16:17], s[4:5], v[10:11] op_sel_hi:[1,0,1]
	v_add_u32_e32 v10, 0x9c4, v76
	s_waitcnt lgkmcnt(0)
	s_barrier
	ds_write2_b32 v76, v82, v83 offset1:1
	ds_write2_b32 v76, v26, v27 offset0:2 offset1:3
	ds_write_b32 v76, v77 offset:16
	ds_write2_b32 v10, v30, v31 offset1:1
	v_add_u32_e32 v10, 0x9cc, v76
	v_pk_add_f32 v[28:29], v[28:29], v[46:47]
	v_pk_mul_f32 v[20:21], v[16:17], s[4:5] op_sel_hi:[1,0]
	ds_write2_b32 v10, v22, v23 offset1:1
	ds_write_b32 v76, v50 offset:2516
	v_add_u32_e32 v10, 0x1388, v76
	v_pk_add_f32 v[14:15], v[20:21], v[14:15] op_sel:[1,0] op_sel_hi:[0,1]
	ds_write2_b32 v10, v28, v29 offset1:1
	v_add_u32_e32 v10, 0x1390, v76
	ds_write2_b32 v10, v8, v9 offset1:1
	ds_write_b32 v76, v44 offset:5016
	s_and_saveexec_b64 s[4:5], vcc
	s_cbranch_execz .LBB0_21
; %bb.20:
	v_add_u32_e32 v8, 0x1d50, v76
	ds_write2_b32 v8, v14, v15 offset1:1
	v_add_u32_e32 v8, 0x1d58, v76
	ds_write_b32 v76, v1 offset:7500
	ds_write2_b32 v8, v12, v13 offset1:1
.LBB0_21:
	s_or_b64 exec, exec, s[4:5]
	v_add_u32_e32 v18, 0x1800, v7
	s_waitcnt lgkmcnt(0)
	s_barrier
	v_add_u32_e32 v16, 0xc00, v7
	ds_read2_b32 v[22:23], v18 offset0:64 offset1:189
	v_add_u32_e32 v18, 0x800, v7
	v_add_u32_e32 v8, 0x300, v7
	ds_read2_b32 v[24:25], v16 offset0:32 offset1:157
	v_add_u32_e32 v16, 0x1000, v7
	ds_read2_b32 v[20:21], v18 offset0:13 offset1:138
	v_add_u32_e32 v18, 0x1400, v7
	ds_read2_b32 v[10:11], v7 offset1:125
	ds_read2_b32 v[8:9], v8 offset0:58 offset1:208
	ds_read2_b32 v[16:17], v16 offset0:26 offset1:176
	;; [unrolled: 1-line block ×3, first 2 shown]
	ds_read_b32 v28, v7 offset:7400
	s_and_saveexec_b64 s[4:5], s[2:3]
	s_xor_b64 s[4:5], exec, s[4:5]
	s_andn2_saveexec_b64 s[4:5], s[4:5]
	s_cbranch_execz .LBB0_23
; %bb.22:
	ds_read_b32 v1, v7 offset:1500
	ds_read_b32 v14, v7 offset:3100
	;; [unrolled: 1-line block ×5, first 2 shown]
.LBB0_23:
	s_or_b64 exec, exec, s[4:5]
	s_movk_i32 s4, 0xcd
	v_mul_lo_u16_sdwa v26, v74, s4 dst_sel:DWORD dst_unused:UNUSED_PAD src0_sel:BYTE_0 src1_sel:DWORD
	v_lshrrev_b16_e32 v29, 10, v26
	v_mul_lo_u16_e32 v26, 5, v29
	v_sub_u16_e32 v34, v74, v26
	v_mov_b32_e32 v26, 5
	v_lshlrev_b32_sdwa v27, v26, v34 dst_sel:DWORD dst_unused:UNUSED_PAD src0_sel:DWORD src1_sel:BYTE_0
	v_add_u16_e32 v46, 0x7d, v74
	global_load_dwordx4 v[30:33], v27, s[8:9]
	global_load_dwordx4 v[76:79], v27, s[8:9] offset:16
	v_mul_lo_u16_sdwa v27, v46, s4 dst_sel:DWORD dst_unused:UNUSED_PAD src0_sel:BYTE_0 src1_sel:DWORD
	v_lshrrev_b16_e32 v48, 10, v27
	v_mul_lo_u16_e32 v27, 5, v48
	v_sub_u16_e32 v35, v46, v27
	v_lshlrev_b32_sdwa v26, v26, v35 dst_sel:DWORD dst_unused:UNUSED_PAD src0_sel:DWORD src1_sel:BYTE_0
	v_add_u32_e32 v44, 0xfa, v74
	s_mov_b32 s4, 0xcccd
	global_load_dwordx4 v[80:83], v26, s[8:9]
	global_load_dwordx4 v[84:87], v26, s[8:9] offset:16
	v_mul_u32_u24_sdwa v26, v44, s4 dst_sel:DWORD dst_unused:UNUSED_PAD src0_sel:WORD_0 src1_sel:DWORD
	v_lshrrev_b32_e32 v73, 18, v26
	v_mul_lo_u16_e32 v26, 5, v73
	v_sub_u16_e32 v47, v44, v26
	v_lshlrev_b32_e32 v26, 5, v47
	global_load_dwordx4 v[88:91], v26, s[8:9]
	global_load_dwordx4 v[92:95], v26, s[8:9] offset:16
	v_add_u32_e32 v45, 0x177, v74
	v_mul_u32_u24_sdwa v26, v45, s4 dst_sel:DWORD dst_unused:UNUSED_PAD src0_sel:WORD_0 src1_sel:DWORD
	v_lshrrev_b32_e32 v27, 18, v26
	v_mul_lo_u16_e32 v26, 5, v27
	v_sub_u16_e32 v26, v45, v26
	v_lshlrev_b32_e32 v49, 5, v26
	global_load_dwordx4 v[96:99], v49, s[8:9]
	global_load_dwordx4 v[100:103], v49, s[8:9] offset:16
	v_mov_b32_e32 v50, 2
	v_lshlrev_b32_sdwa v104, v50, v34 dst_sel:DWORD dst_unused:UNUSED_PAD src0_sel:DWORD src1_sel:BYTE_0
	v_lshlrev_b32_sdwa v105, v50, v35 dst_sel:DWORD dst_unused:UNUSED_PAD src0_sel:DWORD src1_sel:BYTE_0
	v_lshlrev_b32_e32 v106, 2, v47
	s_mov_b32 s4, 0x3f737871
	s_mov_b32 s14, 0x3f167918
	;; [unrolled: 1-line block ×3, first 2 shown]
	s_waitcnt lgkmcnt(0)
	s_barrier
	s_waitcnt vmcnt(7)
	v_mul_f32_e32 v34, v9, v31
	v_mul_f32_e32 v66, v41, v31
	;; [unrolled: 1-line block ×3, first 2 shown]
	v_fma_f32 v70, v41, v30, -v34
	v_mul_f32_e32 v67, v64, v33
	s_waitcnt vmcnt(6)
	v_mul_f32_e32 v33, v17, v77
	v_fma_f32 v64, v64, v32, -v31
	v_mul_f32_e32 v35, v22, v79
	s_waitcnt vmcnt(5)
	v_mul_f32_e32 v49, v20, v81
	v_fma_f32 v71, v57, v76, -v33
	v_mul_f32_e32 v69, v62, v79
	v_mul_f32_e32 v50, v60, v81
	v_fma_f32 v72, v62, v78, -v35
	v_fma_f32 v60, v60, v80, -v49
	v_mul_f32_e32 v68, v57, v77
	s_waitcnt vmcnt(3)
	v_mul_f32_e32 v41, v56, v91
	v_mul_f32_e32 v31, v16, v91
	v_fmac_f32_e32 v41, v16, v90
	v_add_f32_e32 v16, v42, v70
	v_add_f32_e32 v16, v16, v64
	s_waitcnt vmcnt(2)
	v_mul_f32_e32 v49, v75, v95
	v_add_f32_e32 v16, v16, v71
	v_fmac_f32_e32 v66, v9, v30
	v_fmac_f32_e32 v67, v24, v32
	;; [unrolled: 1-line block ×3, first 2 shown]
	v_mul_f32_e32 v32, v19, v93
	v_fmac_f32_e32 v50, v20, v80
	v_mul_f32_e32 v20, v28, v95
	v_fmac_f32_e32 v49, v28, v94
	v_add_f32_e32 v28, v16, v72
	v_add_f32_e32 v16, v64, v71
	v_mul_f32_e32 v52, v58, v85
	v_fmac_f32_e32 v68, v17, v76
	v_mul_f32_e32 v17, v23, v87
	v_mul_f32_e32 v22, v21, v89
	;; [unrolled: 1-line block ×3, first 2 shown]
	v_fma_f32 v55, v56, v90, -v31
	v_fma_f32 v56, v59, v92, -v32
	v_fma_f32 v59, -0.5, v16, v42
	v_sub_f32_e32 v16, v66, v69
	v_mul_f32_e32 v30, v18, v85
	v_mul_f32_e32 v53, v63, v87
	;; [unrolled: 1-line block ×3, first 2 shown]
	v_fmac_f32_e32 v52, v18, v84
	v_fma_f32 v63, v63, v86, -v17
	v_fma_f32 v54, v61, v88, -v22
	v_fmac_f32_e32 v47, v19, v92
	v_fmamk_f32 v61, v16, 0x3f737871, v59
	v_sub_f32_e32 v17, v67, v68
	v_sub_f32_e32 v18, v70, v64
	;; [unrolled: 1-line block ×3, first 2 shown]
	v_fmac_f32_e32 v59, 0xbf737871, v16
	v_fmac_f32_e32 v61, 0x3f167918, v17
	v_add_f32_e32 v18, v18, v19
	v_fmac_f32_e32 v59, 0xbf167918, v17
	v_fmac_f32_e32 v61, 0x3e9e377a, v18
	;; [unrolled: 1-line block ×3, first 2 shown]
	v_add_f32_e32 v18, v70, v72
	v_mul_f32_e32 v24, v25, v83
	v_fma_f32 v42, -0.5, v18, v42
	v_mul_f32_e32 v51, v65, v83
	v_fma_f32 v62, v65, v82, -v24
	v_fmamk_f32 v65, v17, 0xbf737871, v42
	v_fmac_f32_e32 v42, 0x3f737871, v17
	v_fmac_f32_e32 v65, 0x3f167918, v16
	;; [unrolled: 1-line block ×3, first 2 shown]
	v_add_f32_e32 v16, v43, v60
	v_fma_f32 v58, v58, v84, -v30
	v_add_f32_e32 v16, v16, v62
	v_add_f32_e32 v16, v16, v58
	v_fmac_f32_e32 v53, v23, v86
	v_fma_f32 v57, v75, v94, -v20
	v_sub_f32_e32 v18, v64, v70
	v_sub_f32_e32 v19, v71, v72
	v_add_f32_e32 v75, v16, v63
	v_add_f32_e32 v16, v62, v58
	v_fmac_f32_e32 v51, v25, v82
	v_add_f32_e32 v18, v18, v19
	v_fma_f32 v76, -0.5, v16, v43
	v_sub_f32_e32 v16, v50, v53
	v_fmac_f32_e32 v65, 0x3e9e377a, v18
	v_fmac_f32_e32 v42, 0x3e9e377a, v18
	v_fmamk_f32 v77, v16, 0x3f737871, v76
	v_sub_f32_e32 v17, v51, v52
	v_sub_f32_e32 v18, v60, v62
	;; [unrolled: 1-line block ×3, first 2 shown]
	v_fmac_f32_e32 v76, 0xbf737871, v16
	v_fmac_f32_e32 v77, 0x3f167918, v17
	v_add_f32_e32 v18, v18, v19
	v_fmac_f32_e32 v76, 0xbf167918, v17
	v_fmac_f32_e32 v77, 0x3e9e377a, v18
	;; [unrolled: 1-line block ×3, first 2 shown]
	v_add_f32_e32 v18, v60, v63
	v_fmac_f32_e32 v43, -0.5, v18
	v_fmamk_f32 v78, v17, 0xbf737871, v43
	v_fmac_f32_e32 v43, 0x3f737871, v17
	v_fmac_f32_e32 v78, 0x3f167918, v16
	v_fmac_f32_e32 v43, 0xbf167918, v16
	v_add_f32_e32 v16, v40, v54
	v_add_f32_e32 v16, v16, v55
	v_add_f32_e32 v16, v16, v56
	v_fmac_f32_e32 v9, v21, v88
	v_sub_f32_e32 v18, v62, v60
	v_sub_f32_e32 v19, v58, v63
	v_add_f32_e32 v79, v16, v57
	v_add_f32_e32 v16, v55, v56
	;; [unrolled: 1-line block ×3, first 2 shown]
	v_fma_f32 v80, -0.5, v16, v40
	v_sub_f32_e32 v16, v9, v49
	v_fmac_f32_e32 v78, 0x3e9e377a, v18
	v_fmac_f32_e32 v43, 0x3e9e377a, v18
	v_fmamk_f32 v81, v16, 0x3f737871, v80
	v_sub_f32_e32 v17, v41, v47
	v_sub_f32_e32 v18, v54, v55
	;; [unrolled: 1-line block ×3, first 2 shown]
	v_fmac_f32_e32 v80, 0xbf737871, v16
	v_fmac_f32_e32 v81, 0x3f167918, v17
	v_add_f32_e32 v18, v18, v19
	v_fmac_f32_e32 v80, 0xbf167918, v17
	v_fmac_f32_e32 v81, 0x3e9e377a, v18
	;; [unrolled: 1-line block ×3, first 2 shown]
	v_add_f32_e32 v18, v54, v57
	v_fmac_f32_e32 v40, -0.5, v18
	v_fmamk_f32 v82, v17, 0xbf737871, v40
	v_sub_f32_e32 v18, v55, v54
	v_sub_f32_e32 v19, v56, v57
	v_fmac_f32_e32 v40, 0x3f737871, v17
	s_waitcnt vmcnt(1)
	v_mov_b32_e32 v25, v98
	v_fmac_f32_e32 v82, 0x3f167918, v16
	v_add_f32_e32 v18, v18, v19
	v_fmac_f32_e32 v40, 0xbf167918, v16
	v_mov_b32_e32 v17, v98
	v_mov_b32_e32 v98, v97
	v_fmac_f32_e32 v82, 0x3e9e377a, v18
	v_fmac_f32_e32 v40, 0x3e9e377a, v18
	v_mov_b32_e32 v16, v96
	v_pk_mul_f32 v[18:19], v[14:15], v[98:99]
	v_mov_b32_e32 v24, v97
	v_pk_fma_f32 v[32:33], v[38:39], v[16:17], v[18:19] neg_lo:[0,0,1] neg_hi:[0,0,1]
	v_mov_b32_e32 v16, v38
	v_mov_b32_e32 v17, v15
	v_pk_mul_f32 v[16:17], v[16:17], v[24:25]
	v_mov_b32_e32 v18, v39
	v_mov_b32_e32 v19, v14
	;; [unrolled: 1-line block ×4, first 2 shown]
	v_pk_fma_f32 v[34:35], v[18:19], v[14:15], v[16:17] op_sel:[0,0,1] op_sel_hi:[1,1,0]
	s_waitcnt vmcnt(0)
	v_mov_b32_e32 v15, v102
	v_mov_b32_e32 v102, v101
	;; [unrolled: 1-line block ×3, first 2 shown]
	v_pk_mul_f32 v[16:17], v[12:13], v[102:103]
	v_pk_add_f32 v[20:21], v[32:33], v[32:33] op_sel:[1,0] op_sel_hi:[0,1] neg_lo:[0,1] neg_hi:[0,1]
	v_pk_fma_f32 v[38:39], v[36:37], v[14:15], v[16:17] neg_lo:[0,0,1] neg_hi:[0,0,1]
	v_pk_mul_f32 v[16:17], v[36:37], v[102:103]
	v_pk_add_f32 v[22:23], v[38:39], v[38:39] op_sel:[0,1] op_sel_hi:[1,0] neg_lo:[0,1] neg_hi:[0,1]
	v_pk_fma_f32 v[30:31], v[12:13], v[14:15], v[16:17]
	v_pk_add_f32 v[16:17], v[32:33], v[38:39] op_sel:[0,1] op_sel_hi:[1,0]
	v_pk_add_f32 v[14:15], v[34:35], v[30:31] neg_lo:[0,1] neg_hi:[0,1]
	v_pk_fma_f32 v[16:17], -0.5, v[16:17], v[0:1] op_sel_hi:[0,1,0]
	v_add_f32_e32 v12, v0, v32
	v_pk_mul_f32 v[18:19], v[14:15], s[14:15] op_sel_hi:[1,0]
	v_pk_add_f32 v[20:21], v[20:21], v[22:23]
	v_pk_fma_f32 v[22:23], v[14:15], s[4:5], v[16:17] op_sel_hi:[1,0,1] neg_lo:[1,0,0] neg_hi:[1,0,0]
	v_pk_fma_f32 v[14:15], v[14:15], s[4:5], v[16:17] op_sel_hi:[1,0,1]
	v_mul_u32_u24_e32 v0, 0x64, v29
	v_mov_b32_e32 v16, v14
	v_mov_b32_e32 v17, v23
	;; [unrolled: 1-line block ×3, first 2 shown]
	v_add3_u32 v0, 0, v0, v104
	v_mul_u32_u24_e32 v13, 0x64, v48
	v_pk_add_f32 v[16:17], v[16:17], v[18:19] op_sel:[0,1] op_sel_hi:[1,0] neg_lo:[0,1] neg_hi:[0,1]
	v_pk_add_f32 v[14:15], v[18:19], v[22:23] op_sel:[1,0] op_sel_hi:[0,1]
	ds_write2_b32 v0, v28, v61 offset1:5
	ds_write2_b32 v0, v65, v42 offset0:10 offset1:15
	ds_write_b32 v0, v59 offset:80
	v_add3_u32 v59, 0, v13, v105
	v_mul_u32_u24_e32 v13, 0x64, v73
	v_add_f32_e32 v12, v12, v33
	v_pk_fma_f32 v[18:19], v[20:21], s[12:13], v[14:15] op_sel_hi:[1,0,1]
	v_pk_fma_f32 v[16:17], v[20:21], s[12:13], v[16:17] op_sel_hi:[1,0,1]
	v_add3_u32 v61, 0, v13, v106
	v_add_f32_e32 v12, v12, v38
	ds_write2_b32 v59, v75, v77 offset1:5
	ds_write2_b32 v59, v78, v43 offset0:10 offset1:15
	ds_write_b32 v59, v76 offset:80
	ds_write2_b32 v61, v79, v81 offset1:5
	ds_write2_b32 v61, v82, v40 offset0:10 offset1:15
	ds_write_b32 v61, v80 offset:80
	s_and_saveexec_b64 s[4:5], s[2:3]
	s_xor_b64 s[4:5], exec, s[4:5]
	s_or_saveexec_b64 s[4:5], s[4:5]
	v_add_f32_e32 v43, v12, v39
	v_mul_lo_u16_e32 v40, 25, v27
	v_lshlrev_b32_e32 v65, 2, v26
	s_xor_b64 exec, exec, s[4:5]
	s_cbranch_execz .LBB0_25
; %bb.24:
	v_lshlrev_b32_e32 v12, 2, v40
	v_add3_u32 v12, 0, v65, v12
	ds_write2_b32 v12, v43, v19 offset1:5
	ds_write2_b32 v12, v18, v16 offset0:10 offset1:15
	ds_write_b32 v12, v17 offset:80
.LBB0_25:
	s_or_b64 exec, exec, s[4:5]
	v_add_u32_e32 v22, 0x1800, v7
	s_waitcnt lgkmcnt(0)
	s_barrier
	v_add_u32_e32 v20, 0xc00, v7
	ds_read2_b32 v[28:29], v22 offset0:64 offset1:189
	v_add_u32_e32 v22, 0x800, v7
	v_add_u32_e32 v12, 0x300, v7
	ds_read2_b32 v[26:27], v20 offset0:32 offset1:157
	v_add_u32_e32 v20, 0x1000, v7
	ds_read2_b32 v[24:25], v22 offset0:13 offset1:138
	v_add_u32_e32 v22, 0x1400, v7
	ds_read2_b32 v[14:15], v7 offset1:125
	ds_read2_b32 v[12:13], v12 offset0:58 offset1:208
	ds_read2_b32 v[20:21], v20 offset0:26 offset1:176
	;; [unrolled: 1-line block ×3, first 2 shown]
	ds_read_b32 v48, v7 offset:7400
	v_mov_b32_e32 v36, v39
	v_mov_b32_e32 v37, v38
	v_lshl_add_u32 v42, v74, 2, 0
	s_and_saveexec_b64 s[4:5], vcc
	s_cbranch_execz .LBB0_27
; %bb.26:
	ds_read_b32 v19, v7 offset:3100
	ds_read_b32 v18, v7 offset:4700
	;; [unrolled: 1-line block ×5, first 2 shown]
.LBB0_27:
	s_or_b64 exec, exec, s[4:5]
	v_add_f32_e32 v38, v10, v66
	v_add_f32_e32 v38, v38, v67
	;; [unrolled: 1-line block ×5, first 2 shown]
	v_fma_f32 v75, -0.5, v38, v10
	v_sub_f32_e32 v38, v70, v72
	v_fmamk_f32 v70, v38, 0xbf737871, v75
	v_sub_f32_e32 v39, v64, v71
	v_sub_f32_e32 v64, v66, v67
	v_sub_f32_e32 v71, v69, v68
	v_fmac_f32_e32 v75, 0x3f737871, v38
	v_fmac_f32_e32 v70, 0xbf167918, v39
	v_add_f32_e32 v64, v64, v71
	v_fmac_f32_e32 v75, 0x3f167918, v39
	v_fmac_f32_e32 v70, 0x3e9e377a, v64
	;; [unrolled: 1-line block ×3, first 2 shown]
	v_add_f32_e32 v64, v66, v69
	v_fma_f32 v64, -0.5, v64, v10
	v_fmamk_f32 v71, v39, 0x3f737871, v64
	v_sub_f32_e32 v10, v67, v66
	v_sub_f32_e32 v66, v68, v69
	v_fmac_f32_e32 v64, 0xbf737871, v39
	v_fmac_f32_e32 v71, 0xbf167918, v38
	v_add_f32_e32 v10, v10, v66
	v_fmac_f32_e32 v64, 0x3f167918, v38
	v_fmac_f32_e32 v71, 0x3e9e377a, v10
	;; [unrolled: 1-line block ×3, first 2 shown]
	v_add_f32_e32 v10, v11, v50
	v_add_f32_e32 v10, v10, v51
	v_add_f32_e32 v10, v10, v52
	v_add_f32_e32 v66, v10, v53
	v_add_f32_e32 v10, v51, v52
	v_fma_f32 v67, -0.5, v10, v11
	v_sub_f32_e32 v10, v60, v63
	v_fmamk_f32 v60, v10, 0xbf737871, v67
	v_sub_f32_e32 v38, v62, v58
	v_sub_f32_e32 v39, v50, v51
	;; [unrolled: 1-line block ×3, first 2 shown]
	v_fmac_f32_e32 v67, 0x3f737871, v10
	v_fmac_f32_e32 v60, 0xbf167918, v38
	v_add_f32_e32 v39, v39, v58
	v_fmac_f32_e32 v67, 0x3f167918, v38
	v_fmac_f32_e32 v60, 0x3e9e377a, v39
	;; [unrolled: 1-line block ×3, first 2 shown]
	v_add_f32_e32 v39, v50, v53
	v_fmac_f32_e32 v11, -0.5, v39
	v_fmamk_f32 v58, v38, 0x3f737871, v11
	v_fmac_f32_e32 v11, 0xbf737871, v38
	v_fmac_f32_e32 v58, 0xbf167918, v10
	;; [unrolled: 1-line block ×3, first 2 shown]
	v_add_f32_e32 v10, v8, v9
	v_add_f32_e32 v10, v10, v41
	;; [unrolled: 1-line block ×3, first 2 shown]
	v_sub_f32_e32 v39, v51, v50
	v_sub_f32_e32 v50, v52, v53
	v_add_f32_e32 v52, v10, v49
	v_add_f32_e32 v10, v41, v47
	;; [unrolled: 1-line block ×3, first 2 shown]
	v_fma_f32 v53, -0.5, v10, v8
	v_sub_f32_e32 v10, v54, v57
	v_fmac_f32_e32 v58, 0x3e9e377a, v39
	v_fmac_f32_e32 v11, 0x3e9e377a, v39
	v_fmamk_f32 v54, v10, 0xbf737871, v53
	v_sub_f32_e32 v38, v55, v56
	v_sub_f32_e32 v39, v9, v41
	;; [unrolled: 1-line block ×3, first 2 shown]
	v_fmac_f32_e32 v53, 0x3f737871, v10
	v_fmac_f32_e32 v54, 0xbf167918, v38
	v_add_f32_e32 v39, v39, v50
	v_fmac_f32_e32 v53, 0x3f167918, v38
	v_fmac_f32_e32 v54, 0x3e9e377a, v39
	;; [unrolled: 1-line block ×3, first 2 shown]
	v_add_f32_e32 v39, v9, v49
	v_fmac_f32_e32 v8, -0.5, v39
	v_fmamk_f32 v55, v38, 0x3f737871, v8
	v_sub_f32_e32 v9, v41, v9
	v_sub_f32_e32 v39, v47, v49
	v_fmac_f32_e32 v8, 0xbf737871, v38
	v_fmac_f32_e32 v55, 0xbf167918, v10
	v_add_f32_e32 v9, v9, v39
	v_fmac_f32_e32 v8, 0x3f167918, v10
	v_fmac_f32_e32 v55, 0x3e9e377a, v9
	;; [unrolled: 1-line block ×3, first 2 shown]
	v_add_f32_e32 v9, v1, v35
	v_pk_add_f32 v[32:33], v[32:33], v[36:37] neg_lo:[0,1] neg_hi:[0,1]
	v_pk_add_f32 v[36:37], v[34:35], v[30:31]
	v_mov_b32_e32 v10, v1
	s_mov_b32 s14, 0x3f737871
	v_add_f32_e32 v9, v9, v34
	v_pk_fma_f32 v[36:37], -0.5, v[36:37], v[10:11] op_sel_hi:[0,1,0]
	v_pk_add_f32 v[34:35], v[34:35], v[34:35] op_sel:[0,1] op_sel_hi:[1,0] neg_lo:[0,1] neg_hi:[0,1]
	v_pk_add_f32 v[38:39], v[30:31], v[30:31] op_sel:[0,1] op_sel_hi:[1,0] neg_lo:[0,1] neg_hi:[0,1]
	s_mov_b32 s12, 0x3f167918
	v_pk_add_f32 v[38:39], v[34:35], v[38:39]
	v_pk_fma_f32 v[34:35], v[32:33], s[14:15], v[36:37] op_sel_hi:[1,0,1]
	v_pk_fma_f32 v[36:37], v[32:33], s[14:15], v[36:37] op_sel_hi:[1,0,1] neg_lo:[1,0,0] neg_hi:[1,0,0]
	v_mov_b32_e32 v51, v34
	v_mov_b32_e32 v50, v37
	;; [unrolled: 1-line block ×4, first 2 shown]
	s_mov_b32 s4, 0x3e9e377a
	v_pk_fma_f32 v[50:51], v[32:33], s[12:13], v[50:51] op_sel_hi:[1,0,1]
	v_pk_fma_f32 v[32:33], v[32:33], s[12:13], v[34:35] op_sel_hi:[1,0,1] neg_lo:[1,0,0] neg_hi:[1,0,0]
	v_add_f32_e32 v9, v9, v30
	v_pk_fma_f32 v[34:35], v[38:39], s[4:5], v[32:33] op_sel_hi:[1,0,1]
	v_pk_fma_f32 v[32:33], v[38:39], s[4:5], v[50:51] op_sel_hi:[1,0,1]
	s_waitcnt lgkmcnt(0)
	s_barrier
	ds_write2_b32 v0, v73, v70 offset1:5
	ds_write2_b32 v0, v71, v64 offset0:10 offset1:15
	ds_write_b32 v0, v75 offset:80
	ds_write2_b32 v59, v66, v60 offset1:5
	ds_write2_b32 v59, v58, v11 offset0:10 offset1:15
	ds_write_b32 v59, v67 offset:80
	;; [unrolled: 3-line block ×3, first 2 shown]
	s_and_saveexec_b64 s[4:5], s[2:3]
	s_xor_b64 s[2:3], exec, s[4:5]
; %bb.28:
                                        ; implicit-def: $vgpr40
                                        ; implicit-def: $vgpr65
; %bb.29:
	s_or_saveexec_b64 s[2:3], s[2:3]
	v_add_f32_e32 v47, v9, v31
	s_xor_b64 exec, exec, s[2:3]
	s_cbranch_execz .LBB0_31
; %bb.30:
	v_lshlrev_b32_e32 v0, 2, v40
	v_add3_u32 v0, 0, v65, v0
	ds_write2_b32 v0, v47, v35 offset1:5
	ds_write2_b32 v0, v34, v32 offset0:10 offset1:15
	ds_write_b32 v0, v33 offset:80
.LBB0_31:
	s_or_b64 exec, exec, s[2:3]
	v_add_u32_e32 v30, 0x1800, v7
	s_waitcnt lgkmcnt(0)
	s_barrier
	v_add_u32_e32 v10, 0xc00, v7
	ds_read2_b32 v[40:41], v30 offset0:64 offset1:189
	v_add_u32_e32 v30, 0x800, v7
	v_add_u32_e32 v0, 0x300, v7
	ds_read2_b32 v[38:39], v10 offset0:32 offset1:157
	v_add_u32_e32 v10, 0x1000, v7
	ds_read2_b32 v[36:37], v30 offset0:13 offset1:138
	v_add_u32_e32 v30, 0x1400, v7
	ds_read2_b32 v[8:9], v7 offset1:125
	ds_read2_b32 v[0:1], v0 offset0:58 offset1:208
	ds_read2_b32 v[10:11], v10 offset0:26 offset1:176
	;; [unrolled: 1-line block ×3, first 2 shown]
	ds_read_b32 v58, v7 offset:7400
	s_and_saveexec_b64 s[2:3], vcc
	s_cbranch_execz .LBB0_33
; %bb.32:
	ds_read_b32 v35, v7 offset:3100
	ds_read_b32 v34, v7 offset:4700
	;; [unrolled: 1-line block ×5, first 2 shown]
.LBB0_33:
	s_or_b64 exec, exec, s[2:3]
	v_mov_b32_e32 v49, 41
	v_mul_lo_u16_sdwa v50, v74, v49 dst_sel:DWORD dst_unused:UNUSED_PAD src0_sel:BYTE_0 src1_sel:DWORD
	v_mul_lo_u16_sdwa v49, v46, v49 dst_sel:DWORD dst_unused:UNUSED_PAD src0_sel:BYTE_0 src1_sel:DWORD
	v_lshrrev_b16_e32 v59, 10, v50
	v_lshrrev_b16_e32 v72, 10, v49
	v_mul_lo_u16_e32 v50, 25, v59
	v_mul_lo_u16_e32 v49, 25, v72
	v_sub_u16_e32 v50, v74, v50
	v_mov_b32_e32 v51, 5
	v_sub_u16_e32 v46, v46, v49
	v_lshlrev_b32_sdwa v52, v51, v50 dst_sel:DWORD dst_unused:UNUSED_PAD src0_sel:DWORD src1_sel:BYTE_0
	v_lshlrev_b32_sdwa v49, v51, v46 dst_sel:DWORD dst_unused:UNUSED_PAD src0_sel:DWORD src1_sel:BYTE_0
	s_movk_i32 s2, 0x47af
	global_load_dwordx4 v[60:63], v52, s[8:9] offset:160
	global_load_dwordx4 v[64:67], v52, s[8:9] offset:176
	;; [unrolled: 1-line block ×4, first 2 shown]
	v_mul_u32_u24_sdwa v49, v44, s2 dst_sel:DWORD dst_unused:UNUSED_PAD src0_sel:WORD_0 src1_sel:DWORD
	v_sub_u16_sdwa v52, v44, v49 dst_sel:DWORD dst_unused:UNUSED_PAD src0_sel:DWORD src1_sel:WORD_1
	v_lshrrev_b16_e32 v52, 1, v52
	v_add_u16_sdwa v49, v52, v49 dst_sel:DWORD dst_unused:UNUSED_PAD src0_sel:DWORD src1_sel:WORD_1
	v_lshrrev_b16_e32 v73, 4, v49
	v_mul_lo_u16_e32 v49, 25, v73
	v_sub_u16_e32 v44, v44, v49
	v_mul_u32_u24_sdwa v51, v45, s2 dst_sel:DWORD dst_unused:UNUSED_PAD src0_sel:WORD_0 src1_sel:DWORD
	v_lshlrev_b32_e32 v49, 5, v44
	global_load_dwordx4 v[80:83], v49, s[8:9] offset:176
	global_load_dwordx4 v[84:87], v49, s[8:9] offset:160
	v_sub_u16_sdwa v49, v45, v51 dst_sel:DWORD dst_unused:UNUSED_PAD src0_sel:DWORD src1_sel:WORD_1
	v_lshrrev_b16_e32 v49, 1, v49
	v_add_u16_sdwa v49, v49, v51 dst_sel:DWORD dst_unused:UNUSED_PAD src0_sel:DWORD src1_sel:WORD_1
	v_lshrrev_b16_e32 v49, 4, v49
	v_mul_lo_u16_e32 v49, 25, v49
	v_sub_u16_e32 v75, v45, v49
	v_lshlrev_b32_e32 v45, 5, v75
	global_load_dwordx4 v[88:91], v45, s[8:9] offset:160
	global_load_dwordx4 v[92:95], v45, s[8:9] offset:176
	v_mov_b32_e32 v45, 2
	v_lshlrev_b32_sdwa v96, v45, v50 dst_sel:DWORD dst_unused:UNUSED_PAD src0_sel:DWORD src1_sel:BYTE_0
	v_lshlrev_b32_e32 v98, 2, v44
	v_lshlrev_b32_sdwa v97, v45, v46 dst_sel:DWORD dst_unused:UNUSED_PAD src0_sel:DWORD src1_sel:BYTE_0
	s_waitcnt lgkmcnt(0)
	s_barrier
	s_waitcnt vmcnt(7)
	v_mul_f32_e32 v50, v13, v61
	s_waitcnt vmcnt(6)
	v_mul_f32_e32 v57, v40, v67
	v_mul_f32_e32 v53, v28, v67
	s_waitcnt vmcnt(4)
	v_mul_f32_e32 v67, v41, v79
	v_mul_f32_e32 v54, v1, v61
	;; [unrolled: 1-line block ×9, first 2 shown]
	v_fmac_f32_e32 v50, v1, v60
	v_fma_f32 v57, v28, v66, -v57
	v_fmac_f32_e32 v53, v40, v66
	v_fma_f32 v40, v29, v78, -v67
	s_waitcnt vmcnt(2)
	v_mul_f32_e32 v1, v37, v85
	v_mul_f32_e32 v28, v58, v83
	;; [unrolled: 1-line block ×3, first 2 shown]
	s_waitcnt vmcnt(1)
	v_mul_f32_e32 v29, v35, v89
	v_mul_f32_e32 v45, v27, v71
	v_fma_f32 v54, v13, v60, -v54
	v_fmac_f32_e32 v51, v38, v62
	v_fmac_f32_e32 v52, v11, v64
	v_fma_f32 v38, v24, v68, -v61
	v_fmac_f32_e32 v44, v36, v68
	v_fma_f32 v36, v27, v70, -v63
	v_mul_f32_e32 v11, v25, v85
	v_mul_f32_e32 v13, v20, v87
	;; [unrolled: 1-line block ×3, first 2 shown]
	v_fma_f32 v24, v25, v84, -v1
	v_fma_f32 v25, v48, v82, -v28
	;; [unrolled: 1-line block ×3, first 2 shown]
	v_mul_f32_e32 v1, v19, v89
	v_mul_f32_e32 v19, v34, v91
	v_mul_f32_e32 v46, v22, v77
	v_fma_f32 v55, v26, v62, -v55
	v_fma_f32 v56, v21, v64, -v56
	v_mul_f32_e32 v26, v10, v87
	v_mul_f32_e32 v21, v23, v81
	v_fmac_f32_e32 v13, v10, v86
	v_fma_f32 v10, v23, v80, -v27
	v_fma_f32 v29, v18, v90, -v19
	v_mul_f32_e32 v23, v18, v91
	s_waitcnt vmcnt(0)
	v_mul_f32_e32 v18, v32, v93
	v_mul_f32_e32 v65, v30, v77
	v_fmac_f32_e32 v46, v30, v76
	v_fma_f32 v20, v20, v86, -v26
	v_fma_f32 v30, v16, v92, -v18
	v_mul_f32_e32 v26, v16, v93
	v_mul_f32_e32 v16, v33, v95
	v_fmac_f32_e32 v21, v31, v80
	v_fma_f32 v31, v17, v94, -v16
	v_mul_f32_e32 v27, v17, v95
	v_add_f32_e32 v17, v55, v56
	v_fma_f32 v17, -0.5, v17, v14
	v_sub_f32_e32 v18, v50, v53
	v_fmac_f32_e32 v23, v34, v90
	v_fmac_f32_e32 v26, v32, v92
	;; [unrolled: 1-line block ×3, first 2 shown]
	v_fmamk_f32 v19, v18, 0x3f737871, v17
	v_sub_f32_e32 v32, v51, v52
	v_sub_f32_e32 v33, v54, v55
	;; [unrolled: 1-line block ×3, first 2 shown]
	v_fmac_f32_e32 v17, 0xbf737871, v18
	v_fmac_f32_e32 v19, 0x3f167918, v32
	v_add_f32_e32 v33, v33, v34
	v_fmac_f32_e32 v17, 0xbf167918, v32
	v_fmac_f32_e32 v19, 0x3e9e377a, v33
	;; [unrolled: 1-line block ×3, first 2 shown]
	v_add_f32_e32 v33, v54, v57
	v_add_f32_e32 v16, v14, v54
	v_fma_f32 v14, -0.5, v33, v14
	v_fmac_f32_e32 v45, v39, v70
	v_fma_f32 v39, v22, v76, -v65
	v_fmac_f32_e32 v1, v35, v88
	v_fmamk_f32 v34, v32, 0xbf737871, v14
	v_sub_f32_e32 v33, v55, v54
	v_sub_f32_e32 v35, v56, v57
	v_fmac_f32_e32 v14, 0x3f737871, v32
	v_fmac_f32_e32 v49, v41, v78
	;; [unrolled: 1-line block ×3, first 2 shown]
	v_add_f32_e32 v33, v33, v35
	v_fmac_f32_e32 v14, 0xbf167918, v18
	v_add_f32_e32 v32, v36, v39
	v_fmac_f32_e32 v34, 0x3e9e377a, v33
	v_fmac_f32_e32 v14, 0x3e9e377a, v33
	v_fma_f32 v32, -0.5, v32, v15
	v_sub_f32_e32 v33, v44, v49
	v_mul_f32_e32 v22, v48, v83
	v_fmac_f32_e32 v11, v37, v84
	v_fmamk_f32 v35, v33, 0x3f737871, v32
	v_sub_f32_e32 v37, v45, v46
	v_sub_f32_e32 v41, v38, v36
	;; [unrolled: 1-line block ×3, first 2 shown]
	v_fmac_f32_e32 v32, 0xbf737871, v33
	v_fmac_f32_e32 v35, 0x3f167918, v37
	v_add_f32_e32 v41, v41, v48
	v_fmac_f32_e32 v32, 0xbf167918, v37
	v_fmac_f32_e32 v35, 0x3e9e377a, v41
	;; [unrolled: 1-line block ×3, first 2 shown]
	v_add_f32_e32 v41, v38, v40
	v_add_f32_e32 v18, v15, v38
	v_fmac_f32_e32 v15, -0.5, v41
	v_fmamk_f32 v41, v37, 0xbf737871, v15
	v_fmac_f32_e32 v15, 0x3f737871, v37
	v_fmac_f32_e32 v41, 0x3f167918, v33
	;; [unrolled: 1-line block ×3, first 2 shown]
	v_add_f32_e32 v33, v12, v24
	v_add_f32_e32 v33, v33, v20
	v_fmac_f32_e32 v22, v58, v82
	v_sub_f32_e32 v48, v36, v38
	v_sub_f32_e32 v58, v39, v40
	v_add_f32_e32 v33, v33, v10
	v_add_f32_e32 v48, v48, v58
	v_add_f32_e32 v37, v33, v25
	v_add_f32_e32 v33, v20, v10
	v_fmac_f32_e32 v41, 0x3e9e377a, v48
	v_fmac_f32_e32 v15, 0x3e9e377a, v48
	v_fma_f32 v48, -0.5, v33, v12
	v_sub_f32_e32 v33, v11, v22
	v_fmamk_f32 v58, v33, 0x3f737871, v48
	v_sub_f32_e32 v60, v13, v21
	v_sub_f32_e32 v61, v24, v20
	;; [unrolled: 1-line block ×3, first 2 shown]
	v_fmac_f32_e32 v48, 0xbf737871, v33
	v_fmac_f32_e32 v58, 0x3f167918, v60
	v_add_f32_e32 v61, v61, v62
	v_fmac_f32_e32 v48, 0xbf167918, v60
	v_fmac_f32_e32 v58, 0x3e9e377a, v61
	;; [unrolled: 1-line block ×3, first 2 shown]
	v_add_f32_e32 v61, v24, v25
	v_fmac_f32_e32 v12, -0.5, v61
	v_add_f32_e32 v16, v16, v55
	v_fmamk_f32 v61, v60, 0xbf737871, v12
	v_fmac_f32_e32 v12, 0x3f737871, v60
	v_add_f32_e32 v16, v16, v56
	v_fmac_f32_e32 v61, 0x3f167918, v33
	v_fmac_f32_e32 v12, 0xbf167918, v33
	v_mul_u32_u24_e32 v33, 0x1f4, v59
	v_add_f32_e32 v16, v16, v57
	v_add_f32_e32 v18, v18, v36
	v_add3_u32 v33, 0, v33, v96
	v_add_f32_e32 v18, v18, v39
	ds_write2_b32 v33, v16, v19 offset1:25
	ds_write2_b32 v33, v34, v14 offset0:50 offset1:75
	ds_write_b32 v33, v17 offset:400
	v_mul_u32_u24_e32 v14, 0x1f4, v72
	v_add_f32_e32 v18, v18, v40
	v_sub_f32_e32 v62, v20, v24
	v_sub_f32_e32 v63, v10, v25
	v_add3_u32 v34, 0, v14, v97
	v_mul_u32_u24_e32 v14, 0x1f4, v73
	v_add_f32_e32 v62, v62, v63
	ds_write2_b32 v34, v18, v35 offset1:25
	ds_write2_b32 v34, v41, v15 offset0:50 offset1:75
	ds_write_b32 v34, v32 offset:400
	v_add3_u32 v35, 0, v14, v98
	v_lshl_add_u32 v32, v75, 2, 0
	v_fmac_f32_e32 v61, 0x3e9e377a, v62
	v_fmac_f32_e32 v12, 0x3e9e377a, v62
	ds_write2_b32 v35, v37, v58 offset1:25
	ds_write2_b32 v35, v61, v12 offset0:50 offset1:75
	ds_write_b32 v35, v48 offset:400
	s_and_saveexec_b64 s[2:3], vcc
	s_cbranch_execz .LBB0_35
; %bb.34:
	v_sub_f32_e32 v12, v29, v28
	v_sub_f32_e32 v14, v30, v31
	v_add_f32_e32 v12, v12, v14
	v_add_f32_e32 v14, v28, v31
	v_fma_f32 v14, -0.5, v14, v43
	v_sub_f32_e32 v15, v23, v26
	v_fmamk_f32 v16, v15, 0x3f737871, v14
	v_sub_f32_e32 v17, v1, v27
	v_fmac_f32_e32 v14, 0xbf737871, v15
	v_fmac_f32_e32 v16, 0xbf167918, v17
	;; [unrolled: 1-line block ×5, first 2 shown]
	v_sub_f32_e32 v12, v28, v29
	v_sub_f32_e32 v18, v31, v30
	v_add_f32_e32 v12, v12, v18
	v_add_f32_e32 v18, v29, v30
	v_fma_f32 v18, -0.5, v18, v43
	v_fmamk_f32 v19, v17, 0xbf737871, v18
	v_fmac_f32_e32 v18, 0x3f737871, v17
	v_fmac_f32_e32 v19, 0xbf167918, v15
	v_fmac_f32_e32 v18, 0x3f167918, v15
	v_fmac_f32_e32 v19, 0x3e9e377a, v12
	v_fmac_f32_e32 v18, 0x3e9e377a, v12
	v_add_f32_e32 v12, v43, v28
	v_add_f32_e32 v12, v12, v29
	;; [unrolled: 1-line block ×4, first 2 shown]
	v_add_u32_e32 v15, 0x1c00, v32
	ds_write2_b32 v15, v12, v18 offset0:83 offset1:108
	ds_write2_b32 v15, v14, v16 offset0:133 offset1:158
	ds_write_b32 v32, v19 offset:7900
.LBB0_35:
	s_or_b64 exec, exec, s[2:3]
	v_add_f32_e32 v12, v8, v50
	v_add_f32_e32 v12, v12, v51
	;; [unrolled: 1-line block ×5, first 2 shown]
	v_fma_f32 v41, -0.5, v12, v8
	v_sub_f32_e32 v12, v54, v57
	v_fmamk_f32 v43, v12, 0xbf737871, v41
	v_sub_f32_e32 v14, v55, v56
	v_sub_f32_e32 v15, v50, v51
	;; [unrolled: 1-line block ×3, first 2 shown]
	v_fmac_f32_e32 v41, 0x3f737871, v12
	v_fmac_f32_e32 v43, 0xbf167918, v14
	v_add_f32_e32 v15, v15, v16
	v_fmac_f32_e32 v41, 0x3f167918, v14
	v_fmac_f32_e32 v43, 0x3e9e377a, v15
	;; [unrolled: 1-line block ×3, first 2 shown]
	v_add_f32_e32 v15, v50, v53
	v_fma_f32 v48, -0.5, v15, v8
	v_fmamk_f32 v54, v14, 0x3f737871, v48
	v_sub_f32_e32 v8, v51, v50
	v_sub_f32_e32 v15, v52, v53
	v_fmac_f32_e32 v48, 0xbf737871, v14
	v_fmac_f32_e32 v54, 0xbf167918, v12
	v_add_f32_e32 v8, v8, v15
	v_fmac_f32_e32 v48, 0x3f167918, v12
	v_fmac_f32_e32 v54, 0x3e9e377a, v8
	;; [unrolled: 1-line block ×3, first 2 shown]
	v_add_f32_e32 v8, v9, v44
	v_add_f32_e32 v8, v8, v45
	;; [unrolled: 1-line block ×5, first 2 shown]
	v_fma_f32 v51, -0.5, v8, v9
	v_sub_f32_e32 v8, v38, v40
	v_fmamk_f32 v38, v8, 0xbf737871, v51
	v_sub_f32_e32 v12, v36, v39
	v_sub_f32_e32 v14, v44, v45
	;; [unrolled: 1-line block ×3, first 2 shown]
	v_fmac_f32_e32 v51, 0x3f737871, v8
	v_fmac_f32_e32 v38, 0xbf167918, v12
	v_add_f32_e32 v14, v14, v15
	v_fmac_f32_e32 v51, 0x3f167918, v12
	v_fmac_f32_e32 v38, 0x3e9e377a, v14
	;; [unrolled: 1-line block ×3, first 2 shown]
	v_add_f32_e32 v14, v44, v49
	v_fmac_f32_e32 v9, -0.5, v14
	v_fmamk_f32 v36, v12, 0x3f737871, v9
	v_fmac_f32_e32 v9, 0xbf737871, v12
	v_fmac_f32_e32 v36, 0xbf167918, v8
	;; [unrolled: 1-line block ×3, first 2 shown]
	v_add_f32_e32 v8, v0, v11
	v_add_f32_e32 v8, v8, v13
	;; [unrolled: 1-line block ×3, first 2 shown]
	v_sub_f32_e32 v14, v45, v44
	v_sub_f32_e32 v15, v46, v49
	v_add_f32_e32 v39, v8, v22
	v_add_f32_e32 v8, v13, v21
	v_add_f32_e32 v14, v14, v15
	v_fma_f32 v40, -0.5, v8, v0
	v_sub_f32_e32 v8, v24, v25
	v_fmac_f32_e32 v36, 0x3e9e377a, v14
	v_fmac_f32_e32 v9, 0x3e9e377a, v14
	v_fmamk_f32 v44, v8, 0xbf737871, v40
	v_sub_f32_e32 v10, v20, v10
	v_sub_f32_e32 v12, v11, v13
	;; [unrolled: 1-line block ×3, first 2 shown]
	v_fmac_f32_e32 v40, 0x3f737871, v8
	v_fmac_f32_e32 v44, 0xbf167918, v10
	v_add_f32_e32 v12, v12, v14
	v_fmac_f32_e32 v40, 0x3f167918, v10
	v_fmac_f32_e32 v44, 0x3e9e377a, v12
	;; [unrolled: 1-line block ×3, first 2 shown]
	v_add_f32_e32 v12, v11, v22
	v_fmac_f32_e32 v0, -0.5, v12
	v_fmamk_f32 v45, v10, 0x3f737871, v0
	v_fmac_f32_e32 v0, 0xbf737871, v10
	v_fmac_f32_e32 v45, 0xbf167918, v8
	;; [unrolled: 1-line block ×3, first 2 shown]
	v_add_u32_e32 v8, 0x3e0, v7
	s_waitcnt lgkmcnt(0)
	s_barrier
	ds_read2_b32 v[24:25], v8 offset0:2 offset1:252
	v_add_u32_e32 v8, 0x800, v7
	ds_read2_b32 v[14:15], v8 offset0:113 offset1:238
	v_add_u32_e32 v8, 0xc00, v7
	v_sub_f32_e32 v11, v13, v11
	v_sub_f32_e32 v12, v21, v22
	ds_read2_b32 v[20:21], v8 offset0:107 offset1:232
	v_add_u32_e32 v8, 0x1000, v7
	v_add_f32_e32 v11, v11, v12
	ds_read2_b32 v[12:13], v8 offset0:101 offset1:226
	v_add_u32_e32 v8, 0x1400, v7
	ds_read2_b32 v[18:19], v8 offset0:95 offset1:220
	v_add_u32_e32 v8, 0x1800, v7
	v_fmac_f32_e32 v45, 0x3e9e377a, v11
	v_fmac_f32_e32 v0, 0x3e9e377a, v11
	ds_read2_b32 v[10:11], v7 offset1:125
	ds_read2_b32 v[16:17], v8 offset0:89 offset1:214
	ds_read_b32 v8, v42 offset:1500
	ds_read_b32 v22, v7 offset:7500
	s_waitcnt lgkmcnt(0)
	s_barrier
	ds_write2_b32 v33, v37, v43 offset1:25
	ds_write2_b32 v33, v54, v48 offset0:50 offset1:75
	ds_write_b32 v33, v41 offset:400
	ds_write2_b32 v34, v50, v38 offset1:25
	ds_write2_b32 v34, v36, v9 offset0:50 offset1:75
	ds_write_b32 v34, v51 offset:400
	ds_write2_b32 v35, v39, v44 offset1:25
	ds_write2_b32 v35, v45, v0 offset0:50 offset1:75
	ds_write_b32 v35, v40 offset:400
	s_and_saveexec_b64 s[2:3], vcc
	s_cbranch_execz .LBB0_37
; %bb.36:
	v_add_f32_e32 v9, v23, v26
	v_fma_f32 v9, -0.5, v9, v47
	v_sub_f32_e32 v28, v28, v31
	v_fmamk_f32 v31, v28, 0xbf737871, v9
	v_sub_f32_e32 v29, v29, v30
	v_sub_f32_e32 v30, v1, v23
	;; [unrolled: 1-line block ×3, first 2 shown]
	v_fmac_f32_e32 v9, 0x3f737871, v28
	v_fmac_f32_e32 v31, 0xbf167918, v29
	v_add_f32_e32 v30, v30, v33
	v_fmac_f32_e32 v9, 0x3f167918, v29
	v_fmac_f32_e32 v31, 0x3e9e377a, v30
	;; [unrolled: 1-line block ×3, first 2 shown]
	v_add_f32_e32 v30, v1, v27
	v_add_f32_e32 v0, v47, v1
	v_fmac_f32_e32 v47, -0.5, v30
	v_add_f32_e32 v0, v0, v23
	v_fmamk_f32 v30, v29, 0x3f737871, v47
	v_sub_f32_e32 v1, v23, v1
	v_sub_f32_e32 v23, v26, v27
	v_fmac_f32_e32 v47, 0xbf737871, v29
	v_add_f32_e32 v0, v0, v26
	v_fmac_f32_e32 v30, 0xbf167918, v28
	v_add_f32_e32 v1, v1, v23
	v_fmac_f32_e32 v47, 0x3f167918, v28
	v_add_f32_e32 v0, v0, v27
	v_fmac_f32_e32 v30, 0x3e9e377a, v1
	v_fmac_f32_e32 v47, 0x3e9e377a, v1
	v_add_u32_e32 v1, 0x1c00, v32
	ds_write2_b32 v1, v0, v31 offset0:83 offset1:108
	ds_write2_b32 v1, v30, v47 offset0:133 offset1:158
	ds_write_b32 v32, v9 offset:7900
.LBB0_37:
	s_or_b64 exec, exec, s[2:3]
	s_waitcnt lgkmcnt(0)
	s_barrier
	s_and_saveexec_b64 s[2:3], s[0:1]
	s_cbranch_execz .LBB0_39
; %bb.38:
	v_mul_u32_u24_e32 v0, 15, v74
	v_lshlrev_b32_e32 v9, 3, v0
	global_load_dwordx4 v[26:29], v9, s[8:9] offset:992
	global_load_dwordx4 v[30:33], v9, s[8:9] offset:1056
	;; [unrolled: 1-line block ×7, first 2 shown]
	v_mul_lo_u32 v23, s11, v4
	v_mul_lo_u32 v43, s10, v5
	v_mad_u64_u32 v[0:1], s[0:1], s10, v4, 0
	global_load_dwordx2 v[4:5], v9, s[8:9] offset:1072
	v_add_u32_e32 v59, 0x3e0, v7
	v_add_u32_e32 v61, 0x1000, v7
	;; [unrolled: 1-line block ×4, first 2 shown]
	ds_read2_b32 v[56:57], v7 offset1:125
	v_add_u32_e32 v67, 0xc00, v7
	ds_read_b32 v42, v42 offset:1500
	ds_read_b32 v58, v7 offset:7500
	ds_read2_b32 v[78:79], v59 offset0:2 offset1:252
	ds_read2_b32 v[80:81], v61 offset0:101 offset1:226
	;; [unrolled: 1-line block ×5, first 2 shown]
	v_add3_u32 v1, v1, v43, v23
	s_waitcnt lgkmcnt(3)
	v_mov_b32_e32 v88, v81
	v_mov_b32_e32 v68, v13
	;; [unrolled: 1-line block ×3, first 2 shown]
	v_lshl_add_u64 v[0:1], v[0:1], 3, s[6:7]
	v_add_u32_e32 v65, 0x1400, v7
	v_mov_b32_e32 v7, 0
	v_lshl_add_u64 v[0:1], v[2:3], 3, v[0:1]
	s_waitcnt lgkmcnt(2)
	v_mov_b32_e32 v2, v83
	s_waitcnt lgkmcnt(0)
	v_mov_b32_e32 v90, v87
	v_lshl_add_u64 v[0:1], v[6:7], 3, v[0:1]
	v_mov_b32_e32 v6, v85
	v_mov_b32_e32 v60, v15
	;; [unrolled: 1-line block ×8, first 2 shown]
	s_movk_i32 s1, 0x1000
	s_mov_b32 s0, 0x3f3504f3
	s_mov_b32 s2, 0x3ec3ef15
	;; [unrolled: 1-line block ×3, first 2 shown]
	s_waitcnt vmcnt(7)
	v_mov_b32_e32 v92, v29
	v_mov_b32_e32 v93, v28
	v_pk_mul_f32 v[2:3], v[2:3], v[92:93] op_sel_hi:[0,1]
	s_waitcnt vmcnt(4)
	v_pk_mul_f32 v[88:89], v[40:41], v[88:89] op_sel_hi:[1,0]
	v_mov_b32_e32 v92, v33
	v_pk_fma_f32 v[68:69], v[68:69], v[40:41], v[88:89] op_sel:[0,0,1] op_sel_hi:[1,1,0] neg_lo:[0,0,1] neg_hi:[0,0,1]
	v_pk_fma_f32 v[40:41], v[70:71], v[40:41], v[88:89] op_sel:[0,0,1] op_sel_hi:[0,1,0]
	s_waitcnt vmcnt(3)
	v_mov_b32_e32 v70, v47
	v_mov_b32_e32 v71, v46
	;; [unrolled: 1-line block ×3, first 2 shown]
	v_pk_mul_f32 v[70:71], v[90:91], v[70:71] op_sel_hi:[0,1]
	ds_read2_b32 v[90:91], v65 offset0:95 offset1:220
	v_pk_mul_f32 v[6:7], v[6:7], v[92:93] op_sel_hi:[0,1]
	v_pk_mul_f32 v[92:93], v[36:37], v[78:79] op_sel_hi:[1,0]
	v_pk_fma_f32 v[60:61], v[60:61], v[28:29], v[2:3] neg_lo:[0,0,1] neg_hi:[0,0,1]
	v_pk_fma_f32 v[88:89], v[24:25], v[36:37], v[92:93] op_sel:[0,0,1] op_sel_hi:[1,1,0] neg_lo:[0,0,1] neg_hi:[0,0,1]
	v_pk_fma_f32 v[36:37], v[24:25], v[36:37], v[92:93] op_sel:[0,0,1] op_sel_hi:[0,1,0]
	v_mov_b32_e32 v36, v79
	v_mov_b32_e32 v24, v25
	s_waitcnt vmcnt(2)
	v_pk_mul_f32 v[78:79], v[50:51], v[36:37] op_sel_hi:[1,0]
	v_pk_fma_f32 v[2:3], v[62:63], v[28:29], v[2:3] op_sel_hi:[0,1,1]
	v_pk_fma_f32 v[62:63], v[64:65], v[32:33], v[6:7] neg_lo:[0,0,1] neg_hi:[0,0,1]
	v_pk_fma_f32 v[6:7], v[66:67], v[32:33], v[6:7] op_sel_hi:[0,1,1]
	v_mov_b32_e32 v89, v37
	v_pk_fma_f32 v[32:33], v[72:73], v[46:47], v[70:71] neg_lo:[0,0,1] neg_hi:[0,0,1]
	v_pk_fma_f32 v[36:37], v[74:75], v[46:47], v[70:71] op_sel_hi:[0,1,1]
	v_pk_fma_f32 v[76:77], v[76:77], v[50:51], v[78:79] op_sel:[0,0,1] op_sel_hi:[1,1,0] neg_lo:[0,0,1] neg_hi:[0,0,1]
	v_pk_fma_f32 v[24:25], v[24:25], v[50:51], v[78:79] op_sel:[0,0,1] op_sel_hi:[0,1,0]
	v_mov_b32_e32 v50, v10
	v_mov_b32_e32 v51, v56
	s_waitcnt lgkmcnt(0)
	v_mov_b32_e32 v2, v91
	v_mov_b32_e32 v33, v37
	s_waitcnt vmcnt(1)
	v_pk_mul_f32 v[28:29], v[54:55], v[2:3] op_sel_hi:[1,0]
	v_mov_b32_e32 v77, v25
	v_pk_add_f32 v[24:25], v[50:51], v[32:33] neg_lo:[0,1] neg_hi:[0,1]
	v_mov_b32_e32 v10, v19
	v_mov_b32_e32 v32, v19
	v_pk_fma_f32 v[36:37], v[10:11], v[54:55], v[28:29] op_sel:[0,0,1] op_sel_hi:[1,1,0] neg_lo:[0,0,1] neg_hi:[0,0,1]
	v_pk_fma_f32 v[28:29], v[32:33], v[54:55], v[28:29] op_sel:[0,0,1] op_sel_hi:[0,1,0]
	v_mov_b32_e32 v37, v29
	v_pk_mul_f32 v[32:33], v[86:87], v[44:45] op_sel:[0,1] op_sel_hi:[0,0]
	v_pk_add_f32 v[28:29], v[76:77], v[36:37] neg_lo:[0,1] neg_hi:[0,1]
	v_pk_fma_f32 v[36:37], v[20:21], v[44:45], v[32:33] neg_lo:[0,0,1] neg_hi:[0,0,1]
	v_pk_fma_f32 v[20:21], v[20:21], v[44:45], v[32:33] op_sel_hi:[0,1,1]
	v_mov_b32_e32 v37, v21
	s_waitcnt vmcnt(0)
	v_pk_mul_f32 v[20:21], v[58:59], v[4:5] op_sel:[0,1] op_sel_hi:[0,0]
	v_pk_fma_f32 v[32:33], v[22:23], v[4:5], v[20:21] neg_lo:[0,0,1] neg_hi:[0,0,1]
	v_pk_fma_f32 v[4:5], v[22:23], v[4:5], v[20:21] op_sel_hi:[0,1,1]
	v_pk_mul_f32 v[20:21], v[48:49], v[42:43] op_sel_hi:[1,0]
	v_mov_b32_e32 v10, v57
	v_pk_fma_f32 v[22:23], v[8:9], v[48:49], v[20:21] op_sel:[0,0,1] op_sel_hi:[1,1,0] neg_lo:[0,0,1] neg_hi:[0,0,1]
	v_pk_fma_f32 v[8:9], v[8:9], v[48:49], v[20:21] op_sel:[0,0,1] op_sel_hi:[0,1,0]
	v_mov_b32_e32 v23, v9
	v_pk_mul_f32 v[8:9], v[52:53], v[90:91] op_sel_hi:[1,0]
	v_mov_b32_e32 v69, v41
	v_pk_fma_f32 v[20:21], v[18:19], v[52:53], v[8:9] op_sel:[0,0,1] op_sel_hi:[1,1,0] neg_lo:[0,0,1] neg_hi:[0,0,1]
	v_pk_fma_f32 v[8:9], v[18:19], v[52:53], v[8:9] op_sel:[0,0,1] op_sel_hi:[0,1,0]
	v_mov_b32_e32 v21, v9
	v_pk_mul_f32 v[18:19], v[82:83], v[26:27] op_sel:[0,1] op_sel_hi:[0,0]
	v_pk_add_f32 v[8:9], v[22:23], v[20:21] neg_lo:[0,1] neg_hi:[0,1]
	v_pk_fma_f32 v[20:21], v[14:15], v[26:27], v[18:19] neg_lo:[0,0,1] neg_hi:[0,0,1]
	v_pk_fma_f32 v[14:15], v[14:15], v[26:27], v[18:19] op_sel_hi:[0,1,1]
	v_mov_b32_e32 v21, v15
	v_pk_mul_f32 v[14:15], v[84:85], v[30:31] op_sel:[0,1] op_sel_hi:[0,0]
	v_pk_fma_f32 v[18:19], v[16:17], v[30:31], v[14:15] neg_lo:[0,0,1] neg_hi:[0,0,1]
	v_pk_fma_f32 v[14:15], v[16:17], v[30:31], v[14:15] op_sel_hi:[0,1,1]
	v_mov_b32_e32 v19, v15
	v_pk_add_f32 v[14:15], v[20:21], v[18:19] neg_lo:[0,1] neg_hi:[0,1]
	v_pk_mul_f32 v[16:17], v[34:35], v[10:11] op_sel_hi:[1,0]
	v_mov_b32_e32 v10, v11
	v_mov_b32_e32 v18, v11
	v_pk_fma_f32 v[10:11], v[10:11], v[34:35], v[16:17] op_sel:[0,0,1] op_sel_hi:[1,1,0] neg_lo:[0,0,1] neg_hi:[0,0,1]
	v_pk_fma_f32 v[16:17], v[18:19], v[34:35], v[16:17] op_sel:[0,0,1] op_sel_hi:[0,1,0]
	v_mov_b32_e32 v11, v17
	v_pk_mul_f32 v[16:17], v[38:39], v[80:81] op_sel_hi:[1,0]
	v_mov_b32_e32 v61, v3
	v_pk_fma_f32 v[18:19], v[12:13], v[38:39], v[16:17] op_sel:[0,0,1] op_sel_hi:[1,1,0] neg_lo:[0,0,1] neg_hi:[0,0,1]
	v_pk_fma_f32 v[12:13], v[12:13], v[38:39], v[16:17] op_sel:[0,0,1] op_sel_hi:[0,1,0]
	v_mov_b32_e32 v63, v7
	v_mov_b32_e32 v33, v5
	;; [unrolled: 1-line block ×3, first 2 shown]
	v_pk_add_f32 v[2:3], v[88:89], v[68:69] neg_lo:[0,1] neg_hi:[0,1]
	v_pk_add_f32 v[6:7], v[60:61], v[62:63] neg_lo:[0,1] neg_hi:[0,1]
	;; [unrolled: 1-line block ×4, first 2 shown]
	v_pk_fma_f32 v[16:17], v[50:51], 2.0, v[24:25] op_sel_hi:[1,0,1] neg_lo:[0,0,1] neg_hi:[0,0,1]
	v_pk_fma_f32 v[18:19], v[76:77], 2.0, v[28:29] op_sel_hi:[1,0,1] neg_lo:[0,0,1] neg_hi:[0,0,1]
	;; [unrolled: 1-line block ×8, first 2 shown]
	v_pk_add_f32 v[18:19], v[16:17], v[18:19] neg_lo:[0,1] neg_hi:[0,1]
	v_pk_add_f32 v[30:31], v[26:27], v[30:31] neg_lo:[0,1] neg_hi:[0,1]
	;; [unrolled: 1-line block ×4, first 2 shown]
	v_pk_fma_f32 v[16:17], v[16:17], 2.0, v[18:19] op_sel_hi:[1,0,1] neg_lo:[0,0,1] neg_hi:[0,0,1]
	v_pk_fma_f32 v[26:27], v[26:27], 2.0, v[30:31] op_sel_hi:[1,0,1] neg_lo:[0,0,1] neg_hi:[0,0,1]
	;; [unrolled: 1-line block ×4, first 2 shown]
	v_pk_add_f32 v[26:27], v[16:17], v[26:27] neg_lo:[0,1] neg_hi:[0,1]
	v_pk_add_f32 v[22:23], v[10:11], v[22:23] neg_lo:[0,1] neg_hi:[0,1]
	v_pk_fma_f32 v[16:17], v[16:17], 2.0, v[26:27] op_sel_hi:[1,0,1] neg_lo:[0,0,1] neg_hi:[0,0,1]
	v_pk_fma_f32 v[10:11], v[10:11], 2.0, v[22:23] op_sel_hi:[1,0,1] neg_lo:[0,0,1] neg_hi:[0,0,1]
	s_nop 0
	v_pk_add_f32 v[10:11], v[16:17], v[10:11] neg_lo:[0,1] neg_hi:[0,1]
	s_nop 0
	v_pk_fma_f32 v[16:17], v[16:17], 2.0, v[10:11] op_sel_hi:[1,0,1] neg_lo:[0,0,1] neg_hi:[0,0,1]
	global_store_dwordx2 v[0:1], v[16:17], off
	v_pk_add_f32 v[16:17], v[2:3], v[6:7] op_sel:[0,1] op_sel_hi:[1,0] neg_lo:[0,1] neg_hi:[0,1]
	v_pk_add_f32 v[6:7], v[2:3], v[6:7] op_sel:[0,1] op_sel_hi:[1,0]
	s_nop 0
	v_mov_b32_e32 v17, v7
	v_pk_add_f32 v[6:7], v[24:25], v[28:29] op_sel:[0,1] op_sel_hi:[1,0] neg_lo:[0,1] neg_hi:[0,1]
	v_pk_add_f32 v[28:29], v[24:25], v[28:29] op_sel:[0,1] op_sel_hi:[1,0]
	v_pk_fma_f32 v[2:3], v[2:3], 2.0, v[16:17] op_sel_hi:[1,0,1] neg_lo:[0,0,1] neg_hi:[0,0,1]
	v_mov_b32_e32 v7, v29
	v_pk_add_f32 v[28:29], v[8:9], v[4:5] op_sel:[0,1] op_sel_hi:[1,0] neg_lo:[0,1] neg_hi:[0,1]
	v_pk_add_f32 v[4:5], v[8:9], v[4:5] op_sel:[0,1] op_sel_hi:[1,0]
	v_pk_fma_f32 v[24:25], v[24:25], 2.0, v[6:7] op_sel_hi:[1,0,1] neg_lo:[0,0,1] neg_hi:[0,0,1]
	v_mov_b32_e32 v29, v5
	v_pk_add_f32 v[4:5], v[12:13], v[14:15] op_sel:[0,1] op_sel_hi:[1,0] neg_lo:[0,1] neg_hi:[0,1]
	v_pk_add_f32 v[14:15], v[12:13], v[14:15] op_sel:[0,1] op_sel_hi:[1,0]
	v_pk_fma_f32 v[8:9], v[8:9], 2.0, v[28:29] op_sel_hi:[1,0,1] neg_lo:[0,0,1] neg_hi:[0,0,1]
	v_mov_b32_e32 v5, v15
	v_pk_mul_f32 v[14:15], v[2:3], s[0:1] op_sel_hi:[1,0]
	v_pk_fma_f32 v[2:3], v[2:3], s[0:1], v[24:25] op_sel_hi:[1,0,1] neg_lo:[1,0,0] neg_hi:[1,0,0]
	v_pk_fma_f32 v[12:13], v[12:13], 2.0, v[4:5] op_sel_hi:[1,0,1] neg_lo:[0,0,1] neg_hi:[0,0,1]
	v_pk_add_f32 v[34:35], v[2:3], v[14:15] op_sel:[0,1] op_sel_hi:[1,0] neg_lo:[0,1] neg_hi:[0,1]
	v_pk_add_f32 v[2:3], v[2:3], v[14:15] op_sel:[0,1] op_sel_hi:[1,0]
	v_pk_mul_f32 v[14:15], v[8:9], s[0:1] op_sel_hi:[1,0]
	v_pk_fma_f32 v[8:9], v[8:9], s[0:1], v[12:13] op_sel_hi:[1,0,1] neg_lo:[1,0,0] neg_hi:[1,0,0]
	v_mov_b32_e32 v35, v3
	v_pk_add_f32 v[36:37], v[8:9], v[14:15] op_sel:[0,1] op_sel_hi:[1,0] neg_lo:[0,1] neg_hi:[0,1]
	v_pk_add_f32 v[8:9], v[8:9], v[14:15] op_sel:[0,1] op_sel_hi:[1,0]
	v_fmamk_f32 v2, v36, 0x3ec3ef15, v34
	v_mov_b32_e32 v37, v9
	v_fmamk_f32 v15, v9, 0x3ec3ef15, v3
	v_fmamk_f32 v14, v9, 0xbf6c835e, v2
	v_pk_fma_f32 v[8:9], v[12:13], 2.0, v[36:37] op_sel_hi:[1,0,1] neg_lo:[0,0,1] neg_hi:[0,0,1]
	v_pk_fma_f32 v[12:13], v[24:25], 2.0, v[34:35] op_sel_hi:[1,0,1] neg_lo:[0,0,1] neg_hi:[0,0,1]
	v_fma_f32 v2, v34, 2.0, -v14
	v_pk_fma_f32 v[24:25], v[8:9], s[4:5], v[12:13] op_sel_hi:[1,0,1] neg_lo:[1,0,0] neg_hi:[1,0,0]
	v_pk_mul_f32 v[8:9], v[8:9], s[2:3] op_sel_hi:[1,0]
	v_fmac_f32_e32 v15, 0x3f6c835e, v36
	v_pk_add_f32 v[34:35], v[24:25], v[8:9] op_sel:[0,1] op_sel_hi:[1,0] neg_lo:[0,1] neg_hi:[0,1]
	v_pk_add_f32 v[8:9], v[24:25], v[8:9] op_sel:[0,1] op_sel_hi:[1,0]
	v_pk_add_f32 v[24:25], v[20:21], v[32:33] op_sel:[0,1] op_sel_hi:[1,0]
	v_mov_b32_e32 v35, v9
	v_pk_fma_f32 v[8:9], v[12:13], 2.0, v[34:35] op_sel_hi:[1,0,1] neg_lo:[0,0,1] neg_hi:[0,0,1]
	global_store_dwordx2 v[0:1], v[8:9], off offset:1000
	v_pk_add_f32 v[8:9], v[18:19], v[30:31] op_sel:[0,1] op_sel_hi:[1,0] neg_lo:[0,1] neg_hi:[0,1]
	v_pk_add_f32 v[12:13], v[18:19], v[30:31] op_sel:[0,1] op_sel_hi:[1,0]
	v_fma_f32 v3, v3, 2.0, -v15
	v_mov_b32_e32 v9, v13
	v_pk_add_f32 v[12:13], v[20:21], v[32:33] op_sel:[0,1] op_sel_hi:[1,0] neg_lo:[0,1] neg_hi:[0,1]
	v_pk_fma_f32 v[18:19], v[18:19], 2.0, v[8:9] op_sel_hi:[1,0,1] neg_lo:[0,0,1] neg_hi:[0,0,1]
	v_mov_b32_e32 v13, v25
	v_pk_fma_f32 v[20:21], v[20:21], 2.0, v[12:13] op_sel_hi:[1,0,1] neg_lo:[0,0,1] neg_hi:[0,0,1]
	s_nop 0
	v_pk_mul_f32 v[24:25], v[20:21], s[0:1] op_sel_hi:[1,0]
	v_pk_fma_f32 v[20:21], v[20:21], s[0:1], v[18:19] op_sel_hi:[1,0,1] neg_lo:[1,0,0] neg_hi:[1,0,0]
	s_nop 0
	v_pk_add_f32 v[30:31], v[20:21], v[24:25] op_sel:[0,1] op_sel_hi:[1,0] neg_lo:[0,1] neg_hi:[0,1]
	v_pk_add_f32 v[20:21], v[20:21], v[24:25] op_sel:[0,1] op_sel_hi:[1,0]
	v_pk_fma_f32 v[24:25], v[28:29], s[0:1], v[4:5] op_sel_hi:[1,0,1]
	v_mov_b32_e32 v31, v21
	v_pk_fma_f32 v[18:19], v[18:19], 2.0, v[30:31] op_sel_hi:[1,0,1] neg_lo:[0,0,1] neg_hi:[0,0,1]
	global_store_dwordx2 v[0:1], v[18:19], off offset:2000
	v_pk_mul_f32 v[18:19], v[16:17], s[0:1] op_sel_hi:[1,0]
	v_pk_fma_f32 v[16:17], v[16:17], s[0:1], v[6:7] op_sel_hi:[1,0,1]
	s_nop 0
	v_pk_add_f32 v[20:21], v[16:17], v[18:19] op_sel:[0,1] op_sel_hi:[1,0] neg_lo:[0,1] neg_hi:[0,1]
	v_pk_add_f32 v[16:17], v[16:17], v[18:19] op_sel:[0,1] op_sel_hi:[1,0]
	v_pk_mul_f32 v[18:19], v[28:29], s[0:1] op_sel_hi:[1,0]
	v_mov_b32_e32 v21, v17
	v_pk_add_f32 v[28:29], v[24:25], v[18:19] op_sel:[0,1] op_sel_hi:[1,0] neg_lo:[0,1] neg_hi:[0,1]
	v_pk_add_f32 v[18:19], v[24:25], v[18:19] op_sel:[0,1] op_sel_hi:[1,0]
	v_fmamk_f32 v16, v28, 0x3f6c835e, v20
	v_mov_b32_e32 v29, v19
	v_pk_fma_f32 v[4:5], v[4:5], 2.0, v[28:29] op_sel_hi:[1,0,1] neg_lo:[0,0,1] neg_hi:[0,0,1]
	v_pk_fma_f32 v[6:7], v[6:7], 2.0, v[20:21] op_sel_hi:[1,0,1] neg_lo:[0,0,1] neg_hi:[0,0,1]
	v_fmamk_f32 v25, v19, 0x3f6c835e, v17
	v_fmamk_f32 v24, v19, 0xbec3ef15, v16
	v_pk_fma_f32 v[18:19], v[4:5], s[2:3], v[6:7] op_sel_hi:[1,0,1] neg_lo:[1,0,0] neg_hi:[1,0,0]
	v_pk_mul_f32 v[4:5], v[4:5], s[4:5] op_sel_hi:[1,0]
	v_fma_f32 v16, v20, 2.0, -v24
	v_pk_add_f32 v[20:21], v[18:19], v[4:5] op_sel:[0,1] op_sel_hi:[1,0] neg_lo:[0,1] neg_hi:[0,1]
	v_pk_add_f32 v[4:5], v[18:19], v[4:5] op_sel:[0,1] op_sel_hi:[1,0]
	v_fmac_f32_e32 v25, 0x3ec3ef15, v28
	v_mov_b32_e32 v21, v5
	v_pk_fma_f32 v[4:5], v[6:7], 2.0, v[20:21] op_sel_hi:[1,0,1] neg_lo:[0,0,1] neg_hi:[0,0,1]
	global_store_dwordx2 v[0:1], v[4:5], off offset:3000
	v_pk_add_f32 v[4:5], v[26:27], v[22:23] op_sel:[0,1] op_sel_hi:[1,0] neg_lo:[0,1] neg_hi:[0,1]
	v_pk_add_f32 v[6:7], v[26:27], v[22:23] op_sel:[0,1] op_sel_hi:[1,0]
	v_fma_f32 v17, v17, 2.0, -v25
	v_mov_b32_e32 v5, v7
	v_pk_fma_f32 v[6:7], v[26:27], 2.0, v[4:5] op_sel_hi:[1,0,1] neg_lo:[0,0,1] neg_hi:[0,0,1]
	global_store_dwordx2 v[0:1], v[6:7], off offset:4000
	v_add_co_u32_e32 v6, vcc, s1, v0
	s_nop 1
	v_addc_co_u32_e32 v7, vcc, 0, v1, vcc
	global_store_dwordx2 v[6:7], v[2:3], off offset:904
	v_pk_mul_f32 v[2:3], v[12:13], s[0:1] op_sel_hi:[1,0]
	v_pk_fma_f32 v[12:13], v[12:13], s[0:1], v[8:9] op_sel_hi:[1,0,1]
	s_movk_i32 s0, 0x2000
	v_pk_add_f32 v[18:19], v[12:13], v[2:3] op_sel:[0,1] op_sel_hi:[1,0] neg_lo:[0,1] neg_hi:[0,1]
	v_pk_add_f32 v[2:3], v[12:13], v[2:3] op_sel:[0,1] op_sel_hi:[1,0]
	s_nop 0
	v_mov_b32_e32 v19, v3
	v_pk_fma_f32 v[2:3], v[8:9], 2.0, v[18:19] op_sel_hi:[1,0,1] neg_lo:[0,0,1] neg_hi:[0,0,1]
	global_store_dwordx2 v[6:7], v[2:3], off offset:1904
	global_store_dwordx2 v[6:7], v[16:17], off offset:2904
	;; [unrolled: 1-line block ×3, first 2 shown]
	v_add_co_u32_e32 v2, vcc, s0, v0
	s_nop 1
	v_addc_co_u32_e32 v3, vcc, 0, v1, vcc
	v_add_co_u32_e32 v0, vcc, 0x3000, v0
	global_store_dwordx2 v[2:3], v[34:35], off offset:808
	global_store_dwordx2 v[2:3], v[30:31], off offset:1808
	;; [unrolled: 1-line block ×4, first 2 shown]
	v_addc_co_u32_e32 v1, vcc, 0, v1, vcc
	global_store_dwordx2 v[0:1], v[14:15], off offset:712
	global_store_dwordx2 v[0:1], v[18:19], off offset:1712
	global_store_dwordx2 v[0:1], v[24:25], off offset:2712
.LBB0_39:
	s_endpgm
	.section	.rodata,"a",@progbits
	.p2align	6, 0x0
	.amdhsa_kernel fft_rtc_fwd_len2000_factors_5_5_5_16_wgs_125_tpt_125_halfLds_sp_op_CI_CI_unitstride_sbrr_dirReg
		.amdhsa_group_segment_fixed_size 0
		.amdhsa_private_segment_fixed_size 0
		.amdhsa_kernarg_size 104
		.amdhsa_user_sgpr_count 2
		.amdhsa_user_sgpr_dispatch_ptr 0
		.amdhsa_user_sgpr_queue_ptr 0
		.amdhsa_user_sgpr_kernarg_segment_ptr 1
		.amdhsa_user_sgpr_dispatch_id 0
		.amdhsa_user_sgpr_kernarg_preload_length 0
		.amdhsa_user_sgpr_kernarg_preload_offset 0
		.amdhsa_user_sgpr_private_segment_size 0
		.amdhsa_uses_dynamic_stack 0
		.amdhsa_enable_private_segment 0
		.amdhsa_system_sgpr_workgroup_id_x 1
		.amdhsa_system_sgpr_workgroup_id_y 0
		.amdhsa_system_sgpr_workgroup_id_z 0
		.amdhsa_system_sgpr_workgroup_info 0
		.amdhsa_system_vgpr_workitem_id 0
		.amdhsa_next_free_vgpr 107
		.amdhsa_next_free_sgpr 28
		.amdhsa_accum_offset 108
		.amdhsa_reserve_vcc 1
		.amdhsa_float_round_mode_32 0
		.amdhsa_float_round_mode_16_64 0
		.amdhsa_float_denorm_mode_32 3
		.amdhsa_float_denorm_mode_16_64 3
		.amdhsa_dx10_clamp 1
		.amdhsa_ieee_mode 1
		.amdhsa_fp16_overflow 0
		.amdhsa_tg_split 0
		.amdhsa_exception_fp_ieee_invalid_op 0
		.amdhsa_exception_fp_denorm_src 0
		.amdhsa_exception_fp_ieee_div_zero 0
		.amdhsa_exception_fp_ieee_overflow 0
		.amdhsa_exception_fp_ieee_underflow 0
		.amdhsa_exception_fp_ieee_inexact 0
		.amdhsa_exception_int_div_zero 0
	.end_amdhsa_kernel
	.text
.Lfunc_end0:
	.size	fft_rtc_fwd_len2000_factors_5_5_5_16_wgs_125_tpt_125_halfLds_sp_op_CI_CI_unitstride_sbrr_dirReg, .Lfunc_end0-fft_rtc_fwd_len2000_factors_5_5_5_16_wgs_125_tpt_125_halfLds_sp_op_CI_CI_unitstride_sbrr_dirReg
                                        ; -- End function
	.section	.AMDGPU.csdata,"",@progbits
; Kernel info:
; codeLenInByte = 11220
; NumSgprs: 34
; NumVgprs: 107
; NumAgprs: 0
; TotalNumVgprs: 107
; ScratchSize: 0
; MemoryBound: 0
; FloatMode: 240
; IeeeMode: 1
; LDSByteSize: 0 bytes/workgroup (compile time only)
; SGPRBlocks: 4
; VGPRBlocks: 13
; NumSGPRsForWavesPerEU: 34
; NumVGPRsForWavesPerEU: 107
; AccumOffset: 108
; Occupancy: 4
; WaveLimiterHint : 1
; COMPUTE_PGM_RSRC2:SCRATCH_EN: 0
; COMPUTE_PGM_RSRC2:USER_SGPR: 2
; COMPUTE_PGM_RSRC2:TRAP_HANDLER: 0
; COMPUTE_PGM_RSRC2:TGID_X_EN: 1
; COMPUTE_PGM_RSRC2:TGID_Y_EN: 0
; COMPUTE_PGM_RSRC2:TGID_Z_EN: 0
; COMPUTE_PGM_RSRC2:TIDIG_COMP_CNT: 0
; COMPUTE_PGM_RSRC3_GFX90A:ACCUM_OFFSET: 26
; COMPUTE_PGM_RSRC3_GFX90A:TG_SPLIT: 0
	.text
	.p2alignl 6, 3212836864
	.fill 256, 4, 3212836864
	.type	__hip_cuid_f6e051b0252212f9,@object ; @__hip_cuid_f6e051b0252212f9
	.section	.bss,"aw",@nobits
	.globl	__hip_cuid_f6e051b0252212f9
__hip_cuid_f6e051b0252212f9:
	.byte	0                               ; 0x0
	.size	__hip_cuid_f6e051b0252212f9, 1

	.ident	"AMD clang version 19.0.0git (https://github.com/RadeonOpenCompute/llvm-project roc-6.4.0 25133 c7fe45cf4b819c5991fe208aaa96edf142730f1d)"
	.section	".note.GNU-stack","",@progbits
	.addrsig
	.addrsig_sym __hip_cuid_f6e051b0252212f9
	.amdgpu_metadata
---
amdhsa.kernels:
  - .agpr_count:     0
    .args:
      - .actual_access:  read_only
        .address_space:  global
        .offset:         0
        .size:           8
        .value_kind:     global_buffer
      - .offset:         8
        .size:           8
        .value_kind:     by_value
      - .actual_access:  read_only
        .address_space:  global
        .offset:         16
        .size:           8
        .value_kind:     global_buffer
      - .actual_access:  read_only
        .address_space:  global
        .offset:         24
        .size:           8
        .value_kind:     global_buffer
      - .actual_access:  read_only
        .address_space:  global
        .offset:         32
        .size:           8
        .value_kind:     global_buffer
      - .offset:         40
        .size:           8
        .value_kind:     by_value
      - .actual_access:  read_only
        .address_space:  global
        .offset:         48
        .size:           8
        .value_kind:     global_buffer
      - .actual_access:  read_only
        .address_space:  global
        .offset:         56
        .size:           8
        .value_kind:     global_buffer
      - .offset:         64
        .size:           4
        .value_kind:     by_value
      - .actual_access:  read_only
        .address_space:  global
        .offset:         72
        .size:           8
        .value_kind:     global_buffer
      - .actual_access:  read_only
        .address_space:  global
        .offset:         80
        .size:           8
        .value_kind:     global_buffer
      - .actual_access:  read_only
        .address_space:  global
        .offset:         88
        .size:           8
        .value_kind:     global_buffer
      - .actual_access:  write_only
        .address_space:  global
        .offset:         96
        .size:           8
        .value_kind:     global_buffer
    .group_segment_fixed_size: 0
    .kernarg_segment_align: 8
    .kernarg_segment_size: 104
    .language:       OpenCL C
    .language_version:
      - 2
      - 0
    .max_flat_workgroup_size: 125
    .name:           fft_rtc_fwd_len2000_factors_5_5_5_16_wgs_125_tpt_125_halfLds_sp_op_CI_CI_unitstride_sbrr_dirReg
    .private_segment_fixed_size: 0
    .sgpr_count:     34
    .sgpr_spill_count: 0
    .symbol:         fft_rtc_fwd_len2000_factors_5_5_5_16_wgs_125_tpt_125_halfLds_sp_op_CI_CI_unitstride_sbrr_dirReg.kd
    .uniform_work_group_size: 1
    .uses_dynamic_stack: false
    .vgpr_count:     107
    .vgpr_spill_count: 0
    .wavefront_size: 64
amdhsa.target:   amdgcn-amd-amdhsa--gfx950
amdhsa.version:
  - 1
  - 2
...

	.end_amdgpu_metadata
